;; amdgpu-corpus repo=ROCm/rocFFT kind=compiled arch=gfx1030 opt=O3
	.text
	.amdgcn_target "amdgcn-amd-amdhsa--gfx1030"
	.amdhsa_code_object_version 6
	.protected	bluestein_single_back_len910_dim1_dp_op_CI_CI ; -- Begin function bluestein_single_back_len910_dim1_dp_op_CI_CI
	.globl	bluestein_single_back_len910_dim1_dp_op_CI_CI
	.p2align	8
	.type	bluestein_single_back_len910_dim1_dp_op_CI_CI,@function
bluestein_single_back_len910_dim1_dp_op_CI_CI: ; @bluestein_single_back_len910_dim1_dp_op_CI_CI
; %bb.0:
	s_mov_b64 s[50:51], s[2:3]
	s_mov_b64 s[48:49], s[0:1]
	s_load_dwordx4 s[0:3], s[4:5], 0x28
	v_mul_u32_u24_e32 v1, 0x2d1, v0
	v_mov_b32_e32 v253, 0
	s_add_u32 s48, s48, s7
	s_addc_u32 s49, s49, 0
	v_lshrrev_b32_e32 v1, 16, v1
	v_lshl_add_u32 v252, s6, 1, v1
	s_waitcnt lgkmcnt(0)
	v_cmp_gt_u64_e32 vcc_lo, s[0:1], v[252:253]
	s_and_saveexec_b32 s0, vcc_lo
	s_cbranch_execz .LBB0_23
; %bb.1:
	v_mul_lo_u16 v2, 0x5b, v1
	s_clause 0x1
	s_load_dwordx2 s[14:15], s[4:5], 0x0
	s_load_dwordx2 s[12:13], s[4:5], 0x38
	v_and_b32_e32 v1, 1, v1
	v_sub_nc_u16 v0, v0, v2
	v_cmp_eq_u32_e32 vcc_lo, 1, v1
	v_and_b32_e32 v217, 0xffff, v0
	v_cndmask_b32_e64 v185, 0, 0x38e, vcc_lo
	v_cmp_gt_u16_e32 vcc_lo, 0x46, v0
	v_lshlrev_b32_e32 v0, 4, v217
	v_lshlrev_b32_e32 v218, 4, v185
	buffer_store_dword v0, off, s[48:51], 0 ; 4-byte Folded Spill
	s_and_saveexec_b32 s1, vcc_lo
	s_cbranch_execz .LBB0_3
; %bb.2:
	s_load_dwordx2 s[6:7], s[4:5], 0x18
	v_lshlrev_b32_e32 v122, 4, v217
	s_waitcnt lgkmcnt(0)
	v_add_co_u32 v10, s0, s14, v122
	v_add_co_ci_u32_e64 v11, null, s15, 0, s0
	v_add_co_u32 v12, s0, 0x800, v10
	v_add_co_ci_u32_e64 v13, s0, 0, v11, s0
	v_add_co_u32 v20, s0, 0x1000, v10
	v_add_co_ci_u32_e64 v21, s0, 0, v11, s0
	v_add_co_u32 v28, s0, 0x1800, v10
	s_load_dwordx4 s[8:11], s[6:7], 0x0
	v_add_co_ci_u32_e64 v29, s0, 0, v11, s0
	v_add_co_u32 v36, s0, 0x2000, v10
	v_add_co_ci_u32_e64 v37, s0, 0, v11, s0
	v_add_co_u32 v40, s0, 0x2800, v10
	;; [unrolled: 2-line block ×3, first 2 shown]
	v_add_co_ci_u32_e64 v97, s0, 0, v11, s0
	s_clause 0x1
	global_load_dwordx4 v[0:3], v122, s[14:15]
	global_load_dwordx4 v[4:7], v122, s[14:15] offset:1120
	s_waitcnt lgkmcnt(0)
	v_mad_u64_u32 v[16:17], null, s10, v252, 0
	v_mad_u64_u32 v[24:25], null, s8, v217, 0
	s_mul_i32 s6, s9, 0x460
	s_mul_hi_u32 s7, s8, 0x460
	s_add_i32 s7, s7, s6
	v_mov_b32_e32 v8, v17
	v_mad_u64_u32 v[8:9], null, s11, v252, v[8:9]
	v_mov_b32_e32 v9, v25
	v_mad_u64_u32 v[18:19], null, s9, v217, v[9:10]
	v_mov_b32_e32 v17, v8
	s_clause 0x1
	global_load_dwordx4 v[8:11], v[12:13], off offset:192
	global_load_dwordx4 v[12:15], v[12:13], off offset:1312
	v_lshlrev_b64 v[26:27], 4, v[16:17]
	v_mov_b32_e32 v25, v18
	s_clause 0x1
	global_load_dwordx4 v[16:19], v[20:21], off offset:384
	global_load_dwordx4 v[20:23], v[20:21], off offset:1504
	v_lshlrev_b64 v[24:25], 4, v[24:25]
	v_add_co_u32 v26, s0, s2, v26
	v_add_co_ci_u32_e64 v27, s0, s3, v27, s0
	s_mul_i32 s2, s8, 0x460
	v_add_co_u32 v44, s0, v26, v24
	v_add_co_ci_u32_e64 v45, s0, v27, v25, s0
	s_clause 0x1
	global_load_dwordx4 v[24:27], v[28:29], off offset:576
	global_load_dwordx4 v[28:31], v[28:29], off offset:1696
	v_add_co_u32 v48, s0, v44, s2
	v_add_co_ci_u32_e64 v49, s0, s7, v45, s0
	s_clause 0x1
	global_load_dwordx4 v[32:35], v[36:37], off offset:768
	global_load_dwordx4 v[36:39], v[36:37], off offset:1888
	v_add_co_u32 v52, s0, v48, s2
	v_add_co_ci_u32_e64 v53, s0, s7, v49, s0
	global_load_dwordx4 v[40:43], v[40:41], off offset:960
	v_add_co_u32 v56, s0, v52, s2
	v_add_co_ci_u32_e64 v57, s0, s7, v53, s0
	s_clause 0x1
	global_load_dwordx4 v[44:47], v[44:45], off
	global_load_dwordx4 v[48:51], v[48:49], off
	v_add_co_u32 v60, s0, v56, s2
	v_add_co_ci_u32_e64 v61, s0, s7, v57, s0
	global_load_dwordx4 v[52:55], v[52:53], off
	v_add_co_u32 v64, s0, v60, s2
	v_add_co_ci_u32_e64 v65, s0, s7, v61, s0
	s_clause 0x1
	global_load_dwordx4 v[56:59], v[56:57], off
	global_load_dwordx4 v[60:63], v[60:61], off
	v_add_co_u32 v68, s0, v64, s2
	v_add_co_ci_u32_e64 v69, s0, s7, v65, s0
	global_load_dwordx4 v[64:67], v[64:65], off
	v_add_co_u32 v72, s0, v68, s2
	v_add_co_ci_u32_e64 v73, s0, s7, v69, s0
	;; [unrolled: 3-line block ×6, first 2 shown]
	v_add_co_u32 v100, s0, v88, s2
	v_add_co_ci_u32_e64 v101, s0, s7, v89, s0
	global_load_dwordx4 v[84:87], v[84:85], off
	global_load_dwordx4 v[88:91], v[88:89], off
	s_clause 0x1
	global_load_dwordx4 v[92:95], v[96:97], off offset:32
	global_load_dwordx4 v[96:99], v[96:97], off offset:1152
	global_load_dwordx4 v[100:103], v[100:101], off
	s_waitcnt vmcnt(14)
	v_mul_f64 v[104:105], v[46:47], v[2:3]
	v_mul_f64 v[2:3], v[44:45], v[2:3]
	s_waitcnt vmcnt(13)
	v_mul_f64 v[106:107], v[50:51], v[6:7]
	v_mul_f64 v[6:7], v[48:49], v[6:7]
	s_waitcnt vmcnt(12)
	v_mul_f64 v[108:109], v[54:55], v[10:11]
	v_mul_f64 v[10:11], v[52:53], v[10:11]
	s_waitcnt vmcnt(11)
	v_mul_f64 v[110:111], v[58:59], v[14:15]
	v_mul_f64 v[14:15], v[56:57], v[14:15]
	s_waitcnt vmcnt(10)
	v_mul_f64 v[112:113], v[62:63], v[18:19]
	v_mul_f64 v[18:19], v[60:61], v[18:19]
	v_fma_f64 v[44:45], v[44:45], v[0:1], v[104:105]
	s_waitcnt vmcnt(9)
	v_mul_f64 v[104:105], v[66:67], v[22:23]
	v_mul_f64 v[22:23], v[64:65], v[22:23]
	v_fma_f64 v[46:47], v[46:47], v[0:1], -v[2:3]
	v_fma_f64 v[0:1], v[48:49], v[4:5], v[106:107]
	s_waitcnt vmcnt(8)
	v_mul_f64 v[48:49], v[70:71], v[26:27]
	v_mul_f64 v[26:27], v[68:69], v[26:27]
	v_fma_f64 v[2:3], v[50:51], v[4:5], -v[6:7]
	s_waitcnt vmcnt(7)
	v_mul_f64 v[50:51], v[74:75], v[30:31]
	v_mul_f64 v[30:31], v[72:73], v[30:31]
	s_waitcnt vmcnt(6)
	v_mul_f64 v[106:107], v[78:79], v[34:35]
	v_mul_f64 v[34:35], v[76:77], v[34:35]
	v_fma_f64 v[4:5], v[52:53], v[8:9], v[108:109]
	v_fma_f64 v[6:7], v[54:55], v[8:9], -v[10:11]
	s_waitcnt vmcnt(5)
	v_mul_f64 v[114:115], v[82:83], v[38:39]
	v_mul_f64 v[38:39], v[80:81], v[38:39]
	v_fma_f64 v[8:9], v[56:57], v[12:13], v[110:111]
	v_fma_f64 v[10:11], v[58:59], v[12:13], -v[14:15]
	v_fma_f64 v[12:13], v[60:61], v[16:17], v[112:113]
	v_fma_f64 v[14:15], v[62:63], v[16:17], -v[18:19]
	s_waitcnt vmcnt(4)
	v_mul_f64 v[116:117], v[86:87], v[42:43]
	v_mul_f64 v[42:43], v[84:85], v[42:43]
	s_waitcnt vmcnt(2)
	v_mul_f64 v[118:119], v[90:91], v[94:95]
	v_mul_f64 v[94:95], v[88:89], v[94:95]
	s_waitcnt vmcnt(0)
	v_mul_f64 v[120:121], v[102:103], v[98:99]
	v_mul_f64 v[98:99], v[100:101], v[98:99]
	v_fma_f64 v[16:17], v[64:65], v[20:21], v[104:105]
	v_fma_f64 v[18:19], v[66:67], v[20:21], -v[22:23]
	v_fma_f64 v[20:21], v[68:69], v[24:25], v[48:49]
	v_fma_f64 v[22:23], v[70:71], v[24:25], -v[26:27]
	;; [unrolled: 2-line block ×4, first 2 shown]
	v_lshl_add_u32 v52, v217, 4, v218
	v_add_nc_u32_e32 v53, v218, v122
	v_fma_f64 v[32:33], v[80:81], v[36:37], v[114:115]
	v_fma_f64 v[34:35], v[82:83], v[36:37], -v[38:39]
	v_fma_f64 v[36:37], v[84:85], v[40:41], v[116:117]
	v_fma_f64 v[38:39], v[86:87], v[40:41], -v[42:43]
	;; [unrolled: 2-line block ×4, first 2 shown]
	ds_write_b128 v52, v[44:47]
	ds_write_b128 v53, v[0:3] offset:1120
	ds_write_b128 v53, v[4:7] offset:2240
	;; [unrolled: 1-line block ×12, first 2 shown]
.LBB0_3:
	s_or_b32 exec_lo, exec_lo, s1
	s_clause 0x1
	s_load_dwordx2 s[0:1], s[4:5], 0x20
	s_load_dwordx2 s[2:3], s[4:5], 0x8
	s_waitcnt lgkmcnt(0)
	s_waitcnt_vscnt null, 0x0
	s_barrier
	buffer_gl0_inv
                                        ; implicit-def: $vgpr0_vgpr1
                                        ; implicit-def: $vgpr48_vgpr49
                                        ; implicit-def: $vgpr44_vgpr45
                                        ; implicit-def: $vgpr40_vgpr41
                                        ; implicit-def: $vgpr36_vgpr37
                                        ; implicit-def: $vgpr32_vgpr33
                                        ; implicit-def: $vgpr28_vgpr29
                                        ; implicit-def: $vgpr24_vgpr25
                                        ; implicit-def: $vgpr20_vgpr21
                                        ; implicit-def: $vgpr16_vgpr17
                                        ; implicit-def: $vgpr12_vgpr13
                                        ; implicit-def: $vgpr8_vgpr9
                                        ; implicit-def: $vgpr4_vgpr5
	s_and_saveexec_b32 s4, vcc_lo
	s_cbranch_execz .LBB0_5
; %bb.4:
	v_lshlrev_b32_e32 v0, 4, v217
	v_lshl_add_u32 v4, v185, 4, v0
	ds_read_b128 v[0:3], v4
	ds_read_b128 v[48:51], v4 offset:1120
	ds_read_b128 v[44:47], v4 offset:2240
	;; [unrolled: 1-line block ×12, first 2 shown]
.LBB0_5:
	s_or_b32 exec_lo, exec_lo, s4
	s_waitcnt lgkmcnt(0)
	v_add_f64 v[88:89], v[50:51], -v[6:7]
	v_add_f64 v[92:93], v[48:49], -v[4:5]
	s_mov_b32 s4, 0x4267c47c
	s_mov_b32 s6, 0x42a4c3d2
	;; [unrolled: 1-line block ×6, first 2 shown]
	v_add_f64 v[86:87], v[48:49], v[4:5]
	v_add_f64 v[90:91], v[50:51], v[6:7]
	v_add_f64 v[56:57], v[46:47], -v[10:11]
	v_add_f64 v[54:55], v[44:45], -v[8:9]
	s_mov_b32 s8, 0xe00740e9
	s_mov_b32 s10, 0x1ea71119
	;; [unrolled: 1-line block ×10, first 2 shown]
	v_mul_f64 v[110:111], v[88:89], s[4:5]
	v_mul_f64 v[112:113], v[92:93], s[4:5]
	;; [unrolled: 1-line block ×6, first 2 shown]
	v_add_f64 v[52:53], v[44:45], v[8:9]
	v_add_f64 v[62:63], v[46:47], v[10:11]
	v_add_f64 v[64:65], v[42:43], -v[14:15]
	v_add_f64 v[58:59], v[40:41], -v[12:13]
	v_mul_f64 v[128:129], v[56:57], s[6:7]
	v_mul_f64 v[136:137], v[54:55], s[6:7]
	;; [unrolled: 1-line block ×6, first 2 shown]
	s_mov_b32 s22, 0xb2365da1
	s_mov_b32 s28, 0x93053d00
	;; [unrolled: 1-line block ×6, first 2 shown]
	v_fma_f64 v[68:69], v[86:87], s[8:9], v[110:111]
	v_fma_f64 v[70:71], v[90:91], s[8:9], -v[112:113]
	v_fma_f64 v[72:73], v[86:87], s[10:11], v[140:141]
	v_fma_f64 v[74:75], v[90:91], s[10:11], -v[144:145]
	;; [unrolled: 2-line block ×3, first 2 shown]
	v_add_f64 v[60:61], v[40:41], v[12:13]
	v_add_f64 v[80:81], v[42:43], v[14:15]
	v_add_f64 v[66:67], v[36:37], -v[16:17]
	v_add_f64 v[82:83], v[38:39], -v[18:19]
	v_mul_f64 v[142:143], v[64:65], s[16:17]
	v_mul_f64 v[146:147], v[58:59], s[16:17]
	v_fma_f64 v[106:107], v[52:53], s[10:11], v[128:129]
	v_fma_f64 v[108:109], v[62:63], s[10:11], -v[136:137]
	v_mul_f64 v[130:131], v[64:65], s[24:25]
	v_fma_f64 v[114:115], v[52:53], s[22:23], v[122:123]
	v_mul_f64 v[134:135], v[58:59], s[24:25]
	v_fma_f64 v[132:133], v[62:63], s[22:23], -v[124:125]
	v_mul_f64 v[120:121], v[64:65], s[26:27]
	v_fma_f64 v[138:139], v[52:53], s[28:29], v[116:117]
	v_mul_f64 v[126:127], v[58:59], s[26:27]
	v_fma_f64 v[148:149], v[62:63], s[28:29], -v[118:119]
	v_add_f64 v[68:69], v[0:1], v[68:69]
	v_add_f64 v[70:71], v[2:3], v[70:71]
	;; [unrolled: 1-line block ×6, first 2 shown]
	s_mov_b32 s40, 0x24c2f84
	s_mov_b32 s41, 0x3fe5384d
	;; [unrolled: 1-line block ×4, first 2 shown]
	v_add_f64 v[84:85], v[36:37], v[16:17]
	v_add_f64 v[100:101], v[38:39], v[18:19]
	v_add_f64 v[94:95], v[32:33], -v[20:21]
	v_add_f64 v[98:99], v[34:35], -v[22:23]
	v_mul_f64 v[158:159], v[82:83], s[18:19]
	v_mul_f64 v[164:165], v[66:67], s[18:19]
	v_fma_f64 v[152:153], v[60:61], s[20:21], v[142:143]
	v_fma_f64 v[156:157], v[80:81], s[20:21], -v[146:147]
	v_mul_f64 v[150:151], v[82:83], s[40:41]
	v_mul_f64 v[154:155], v[66:67], s[40:41]
	v_fma_f64 v[160:161], v[60:61], s[22:23], v[120:121]
	v_fma_f64 v[168:169], v[80:81], s[22:23], -v[126:127]
	v_add_f64 v[68:69], v[106:107], v[68:69]
	v_add_f64 v[70:71], v[108:109], v[70:71]
	v_fma_f64 v[108:109], v[60:61], s[28:29], v[130:131]
	v_add_f64 v[72:73], v[114:115], v[72:73]
	v_fma_f64 v[114:115], v[80:81], s[28:29], -v[134:135]
	v_add_f64 v[74:75], v[132:133], v[74:75]
	v_add_f64 v[76:77], v[138:139], v[76:77]
	v_mul_f64 v[132:133], v[82:83], s[34:35]
	v_mul_f64 v[138:139], v[66:67], s[34:35]
	v_add_f64 v[78:79], v[148:149], v[78:79]
	s_mov_b32 s38, 0xd0032e0c
	s_mov_b32 s31, 0xbfe5384d
	;; [unrolled: 1-line block ×6, first 2 shown]
	v_add_f64 v[96:97], v[32:33], v[20:21]
	v_add_f64 v[104:105], v[34:35], v[22:23]
	v_add_f64 v[102:103], v[28:29], -v[24:25]
	v_add_f64 v[106:107], v[30:31], -v[26:27]
	v_mul_f64 v[171:172], v[98:99], s[30:31]
	v_mul_f64 v[175:176], v[94:95], s[30:31]
	v_fma_f64 v[173:174], v[84:85], s[22:23], v[158:159]
	v_fma_f64 v[186:187], v[100:101], s[22:23], -v[164:165]
	v_add_f64 v[68:69], v[152:153], v[68:69]
	v_add_f64 v[70:71], v[156:157], v[70:71]
	;; [unrolled: 1-line block ×3, first 2 shown]
	v_fma_f64 v[156:157], v[84:85], s[38:39], v[150:151]
	v_mul_f64 v[162:163], v[98:99], s[36:37]
	v_add_f64 v[74:75], v[114:115], v[74:75]
	v_fma_f64 v[188:189], v[100:101], s[38:39], -v[154:155]
	v_mul_f64 v[166:167], v[94:95], s[36:37]
	v_add_f64 v[76:77], v[160:161], v[76:77]
	v_fma_f64 v[190:191], v[84:85], s[8:9], v[132:133]
	v_fma_f64 v[192:193], v[100:101], s[8:9], -v[138:139]
	v_mul_f64 v[148:149], v[98:99], s[6:7]
	v_mul_f64 v[152:153], v[94:95], s[6:7]
	v_add_f64 v[78:79], v[168:169], v[78:79]
	v_add_f64 v[108:109], v[28:29], v[24:25]
	;; [unrolled: 1-line block ×3, first 2 shown]
	v_mul_f64 v[181:182], v[102:103], s[24:25]
	v_mul_f64 v[177:178], v[106:107], s[24:25]
	v_fma_f64 v[194:195], v[96:97], s[38:39], v[171:172]
	v_fma_f64 v[196:197], v[104:105], s[38:39], -v[175:176]
	v_mul_f64 v[169:170], v[106:107], s[34:35]
	v_mul_f64 v[160:161], v[102:103], s[30:31]
	v_add_f64 v[68:69], v[173:174], v[68:69]
	v_add_f64 v[70:71], v[186:187], v[70:71]
	v_mul_f64 v[173:174], v[102:103], s[34:35]
	v_add_f64 v[72:73], v[156:157], v[72:73]
	v_fma_f64 v[186:187], v[96:97], s[20:21], v[162:163]
	v_mul_f64 v[156:157], v[106:107], s[30:31]
	v_add_f64 v[74:75], v[188:189], v[74:75]
	v_fma_f64 v[188:189], v[104:105], s[20:21], -v[166:167]
	v_mul_lo_u16 v168, v217, 13
	v_add_f64 v[76:77], v[190:191], v[76:77]
	v_fma_f64 v[190:191], v[96:97], s[10:11], v[148:149]
	v_fma_f64 v[198:199], v[104:105], s[10:11], -v[152:153]
	v_add_f64 v[78:79], v[192:193], v[78:79]
	buffer_store_dword v168, off, s[48:51], 0 offset:40 ; 4-byte Folded Spill
	s_waitcnt_vscnt null, 0x0
	v_fma_f64 v[200:201], v[114:115], s[28:29], -v[181:182]
	v_fma_f64 v[192:193], v[108:109], s[28:29], v[177:178]
	s_barrier
	buffer_gl0_inv
	v_fma_f64 v[202:203], v[108:109], s[8:9], v[169:170]
	v_fma_f64 v[208:209], v[114:115], s[38:39], -v[160:161]
	v_add_f64 v[68:69], v[194:195], v[68:69]
	v_add_f64 v[70:71], v[196:197], v[70:71]
	v_fma_f64 v[204:205], v[114:115], s[8:9], -v[173:174]
	v_add_f64 v[72:73], v[186:187], v[72:73]
	v_fma_f64 v[206:207], v[108:109], s[38:39], v[156:157]
	v_add_f64 v[74:75], v[188:189], v[74:75]
	v_add_f64 v[186:187], v[190:191], v[76:77]
	;; [unrolled: 1-line block ×9, first 2 shown]
	s_and_saveexec_b32 s33, vcc_lo
	s_cbranch_execz .LBB0_7
; %bb.6:
	v_add_f64 v[48:49], v[0:1], v[48:49]
	v_add_f64 v[50:51], v[2:3], v[50:51]
	s_mov_b32 s43, 0x3fcea1e5
	s_mov_b32 s42, s24
	;; [unrolled: 1-line block ×4, first 2 shown]
	v_add_f64 v[44:45], v[48:49], v[44:45]
	v_add_f64 v[46:47], v[50:51], v[46:47]
	;; [unrolled: 1-line block ×8, first 2 shown]
	v_mul_f64 v[36:37], v[88:89], s[18:19]
	v_add_f64 v[28:29], v[32:33], v[28:29]
	v_add_f64 v[30:31], v[34:35], v[30:31]
	v_mul_f64 v[32:33], v[88:89], s[24:25]
	v_mul_f64 v[34:35], v[88:89], s[30:31]
	v_fma_f64 v[42:43], v[86:87], s[22:23], -v[36:37]
	v_fma_f64 v[36:37], v[86:87], s[22:23], v[36:37]
	v_add_f64 v[24:25], v[28:29], v[24:25]
	v_add_f64 v[26:27], v[30:31], v[26:27]
	v_mul_f64 v[28:29], v[86:87], s[8:9]
	v_mul_f64 v[30:31], v[86:87], s[10:11]
	v_fma_f64 v[38:39], v[86:87], s[28:29], v[32:33]
	v_fma_f64 v[32:33], v[86:87], s[28:29], -v[32:33]
	v_fma_f64 v[40:41], v[86:87], s[38:39], v[34:35]
	v_fma_f64 v[34:35], v[86:87], s[38:39], -v[34:35]
	v_add_f64 v[20:21], v[24:25], v[20:21]
	v_add_f64 v[22:23], v[26:27], v[22:23]
	v_mul_f64 v[24:25], v[90:91], s[10:11]
	v_mul_f64 v[26:27], v[90:91], s[8:9]
	v_add_f64 v[28:29], v[28:29], -v[110:111]
	v_add_f64 v[30:31], v[30:31], -v[140:141]
	v_add_f64 v[38:39], v[0:1], v[38:39]
	v_add_f64 v[32:33], v[0:1], v[32:33]
	;; [unrolled: 1-line block ×4, first 2 shown]
	v_mul_f64 v[110:111], v[106:107], s[36:37]
	v_add_f64 v[16:17], v[20:21], v[16:17]
	v_add_f64 v[18:19], v[22:23], v[18:19]
	v_mul_f64 v[22:23], v[86:87], s[20:21]
	v_add_f64 v[24:25], v[144:145], v[24:25]
	v_add_f64 v[26:27], v[112:113], v[26:27]
	;; [unrolled: 3-line block ×3, first 2 shown]
	v_mul_f64 v[16:17], v[90:91], s[22:23]
	v_add_f64 v[22:23], v[22:23], -v[179:180]
	v_add_f64 v[20:21], v[183:184], v[20:21]
	v_add_f64 v[8:9], v[12:13], v[8:9]
	v_mul_f64 v[12:13], v[90:91], s[38:39]
	v_add_f64 v[10:11], v[14:15], v[10:11]
	v_fma_f64 v[18:19], v[92:93], s[26:27], v[16:17]
	v_fma_f64 v[16:17], v[92:93], s[18:19], v[16:17]
	v_add_f64 v[22:23], v[0:1], v[22:23]
	v_add_f64 v[20:21], v[2:3], v[20:21]
	;; [unrolled: 1-line block ×3, first 2 shown]
	v_mul_f64 v[8:9], v[90:91], s[28:29]
	v_fma_f64 v[14:15], v[92:93], s[40:41], v[12:13]
	v_add_f64 v[6:7], v[10:11], v[6:7]
	v_fma_f64 v[12:13], v[92:93], s[30:31], v[12:13]
	v_add_f64 v[48:49], v[2:3], v[16:17]
	v_add_f64 v[16:17], v[2:3], v[24:25]
	;; [unrolled: 1-line block ×4, first 2 shown]
	v_mul_f64 v[36:37], v[80:81], s[38:39]
	v_fma_f64 v[10:11], v[92:93], s[42:43], v[8:9]
	v_add_f64 v[44:45], v[2:3], v[14:15]
	v_add_f64 v[14:15], v[0:1], v[28:29]
	v_add_f64 v[28:29], v[2:3], v[18:19]
	v_mul_f64 v[18:19], v[62:63], s[8:9]
	v_add_f64 v[46:47], v[2:3], v[12:13]
	v_add_f64 v[12:13], v[2:3], v[26:27]
	;; [unrolled: 1-line block ×3, first 2 shown]
	v_fma_f64 v[8:9], v[92:93], s[24:25], v[8:9]
	v_mul_f64 v[92:93], v[114:115], s[20:21]
	v_add_f64 v[10:11], v[2:3], v[10:11]
	v_fma_f64 v[0:1], v[54:55], s[4:5], v[18:19]
	v_fma_f64 v[18:19], v[54:55], s[34:35], v[18:19]
	v_add_f64 v[8:9], v[2:3], v[8:9]
	v_add_f64 v[0:1], v[0:1], v[10:11]
	v_mul_f64 v[10:11], v[56:57], s[34:35]
	v_add_f64 v[8:9], v[18:19], v[8:9]
	v_fma_f64 v[18:19], v[58:59], s[30:31], v[36:37]
	v_fma_f64 v[2:3], v[52:53], s[8:9], v[10:11]
	v_fma_f64 v[10:11], v[52:53], s[8:9], -v[10:11]
	v_add_f64 v[8:9], v[18:19], v[8:9]
	v_add_f64 v[2:3], v[2:3], v[38:39]
	v_fma_f64 v[38:39], v[58:59], s[40:41], v[36:37]
	v_add_f64 v[10:11], v[10:11], v[32:33]
	v_fma_f64 v[32:33], v[108:109], s[20:21], -v[110:111]
	v_mul_f64 v[36:37], v[80:81], s[20:21]
	v_add_f64 v[0:1], v[38:39], v[0:1]
	v_mul_f64 v[38:39], v[64:65], s[30:31]
	v_add_f64 v[36:37], v[146:147], v[36:37]
	v_fma_f64 v[42:43], v[60:61], s[38:39], v[38:39]
	v_fma_f64 v[18:19], v[60:61], s[38:39], -v[38:39]
	v_mul_f64 v[38:39], v[60:61], s[20:21]
	v_add_f64 v[2:3], v[42:43], v[2:3]
	v_mul_f64 v[42:43], v[100:101], s[10:11]
	v_add_f64 v[10:11], v[18:19], v[10:11]
	v_add_f64 v[38:39], v[38:39], -v[142:143]
	v_fma_f64 v[50:51], v[66:67], s[6:7], v[42:43]
	v_fma_f64 v[18:19], v[66:67], s[44:45], v[42:43]
	v_mul_f64 v[42:43], v[100:101], s[22:23]
	v_add_f64 v[0:1], v[50:51], v[0:1]
	v_mul_f64 v[50:51], v[82:83], s[44:45]
	v_add_f64 v[8:9], v[18:19], v[8:9]
	v_add_f64 v[42:43], v[164:165], v[42:43]
	v_fma_f64 v[86:87], v[84:85], s[10:11], v[50:51]
	v_fma_f64 v[18:19], v[84:85], s[10:11], -v[50:51]
	v_mul_f64 v[50:51], v[84:85], s[22:23]
	v_add_f64 v[2:3], v[86:87], v[2:3]
	v_mul_f64 v[86:87], v[104:105], s[22:23]
	v_add_f64 v[10:11], v[18:19], v[10:11]
	v_add_f64 v[50:51], v[50:51], -v[158:159]
	v_fma_f64 v[88:89], v[94:95], s[26:27], v[86:87]
	v_fma_f64 v[18:19], v[94:95], s[18:19], v[86:87]
	v_mul_f64 v[86:87], v[104:105], s[38:39]
	v_add_f64 v[0:1], v[88:89], v[0:1]
	v_mul_f64 v[88:89], v[98:99], s[18:19]
	v_add_f64 v[8:9], v[18:19], v[8:9]
	v_add_f64 v[86:87], v[175:176], v[86:87]
	v_fma_f64 v[18:19], v[96:97], s[22:23], -v[88:89]
	v_fma_f64 v[90:91], v[96:97], s[22:23], v[88:89]
	v_mul_f64 v[88:89], v[96:97], s[10:11]
	v_add_f64 v[18:19], v[18:19], v[10:11]
	v_fma_f64 v[10:11], v[102:103], s[36:37], v[92:93]
	v_add_f64 v[90:91], v[90:91], v[2:3]
	v_fma_f64 v[2:3], v[102:103], s[16:17], v[92:93]
	v_add_f64 v[88:89], v[88:89], -v[148:149]
	v_mul_f64 v[92:93], v[108:109], s[38:39]
	v_add_f64 v[10:11], v[10:11], v[8:9]
	v_add_f64 v[8:9], v[32:33], v[18:19]
	v_mul_f64 v[18:19], v[62:63], s[10:11]
	v_mul_f64 v[32:33], v[52:53], s[10:11]
	v_add_f64 v[2:3], v[2:3], v[0:1]
	v_fma_f64 v[0:1], v[108:109], s[20:21], v[110:111]
	v_add_f64 v[92:93], v[92:93], -v[156:157]
	v_add_f64 v[18:19], v[136:137], v[18:19]
	v_add_f64 v[32:33], v[32:33], -v[128:129]
	v_add_f64 v[0:1], v[0:1], v[90:91]
	v_mul_f64 v[90:91], v[114:115], s[38:39]
	v_add_f64 v[12:13], v[18:19], v[12:13]
	v_add_f64 v[14:15], v[32:33], v[14:15]
	v_mul_f64 v[18:19], v[96:97], s[38:39]
	v_mul_f64 v[32:33], v[114:115], s[28:29]
	v_add_f64 v[90:91], v[160:161], v[90:91]
	v_add_f64 v[12:13], v[36:37], v[12:13]
	;; [unrolled: 1-line block ×3, first 2 shown]
	v_add_f64 v[18:19], v[18:19], -v[171:172]
	v_mul_f64 v[36:37], v[108:109], s[28:29]
	v_add_f64 v[32:33], v[181:182], v[32:33]
	v_mul_f64 v[38:39], v[60:61], s[28:29]
	v_add_f64 v[12:13], v[42:43], v[12:13]
	v_add_f64 v[14:15], v[50:51], v[14:15]
	v_mul_f64 v[42:43], v[100:101], s[38:39]
	v_add_f64 v[36:37], v[36:37], -v[177:178]
	v_mul_f64 v[50:51], v[84:85], s[38:39]
	v_add_f64 v[38:39], v[38:39], -v[130:131]
	v_add_f64 v[12:13], v[86:87], v[12:13]
	v_add_f64 v[18:19], v[18:19], v[14:15]
	;; [unrolled: 1-line block ×3, first 2 shown]
	v_mul_f64 v[86:87], v[104:105], s[20:21]
	v_add_f64 v[50:51], v[50:51], -v[150:151]
	v_add_f64 v[14:15], v[32:33], v[12:13]
	v_add_f64 v[12:13], v[36:37], v[18:19]
	v_mul_f64 v[18:19], v[62:63], s[22:23]
	v_mul_f64 v[32:33], v[52:53], s[22:23]
	;; [unrolled: 1-line block ×3, first 2 shown]
	v_add_f64 v[86:87], v[166:167], v[86:87]
	v_add_f64 v[18:19], v[124:125], v[18:19]
	v_add_f64 v[32:33], v[32:33], -v[122:123]
	v_add_f64 v[36:37], v[134:135], v[36:37]
	v_add_f64 v[16:17], v[18:19], v[16:17]
	;; [unrolled: 1-line block ×3, first 2 shown]
	v_mul_f64 v[24:25], v[96:97], s[20:21]
	v_mul_f64 v[32:33], v[114:115], s[8:9]
	v_add_f64 v[16:17], v[36:37], v[16:17]
	v_add_f64 v[18:19], v[38:39], v[18:19]
	v_add_f64 v[24:25], v[24:25], -v[162:163]
	v_mul_f64 v[36:37], v[108:109], s[8:9]
	v_add_f64 v[32:33], v[173:174], v[32:33]
	v_mul_f64 v[38:39], v[60:61], s[22:23]
	v_add_f64 v[16:17], v[42:43], v[16:17]
	v_add_f64 v[18:19], v[50:51], v[18:19]
	v_mul_f64 v[42:43], v[100:101], s[8:9]
	v_add_f64 v[36:37], v[36:37], -v[169:170]
	v_mul_f64 v[50:51], v[84:85], s[8:9]
	v_add_f64 v[38:39], v[38:39], -v[120:121]
	v_add_f64 v[16:17], v[86:87], v[16:17]
	v_add_f64 v[24:25], v[24:25], v[18:19]
	;; [unrolled: 1-line block ×3, first 2 shown]
	v_mul_f64 v[86:87], v[104:105], s[10:11]
	v_add_f64 v[50:51], v[50:51], -v[132:133]
	v_add_f64 v[18:19], v[32:33], v[16:17]
	v_add_f64 v[16:17], v[36:37], v[24:25]
	v_mul_f64 v[24:25], v[62:63], s[28:29]
	v_mul_f64 v[32:33], v[52:53], s[28:29]
	;; [unrolled: 1-line block ×3, first 2 shown]
	v_add_f64 v[86:87], v[152:153], v[86:87]
	v_add_f64 v[24:25], v[118:119], v[24:25]
	v_add_f64 v[32:33], v[32:33], -v[116:117]
	v_add_f64 v[36:37], v[126:127], v[36:37]
	v_add_f64 v[20:21], v[24:25], v[20:21]
	v_mul_f64 v[24:25], v[62:63], s[38:39]
	v_add_f64 v[22:23], v[32:33], v[22:23]
	v_mul_f64 v[62:63], v[62:63], s[20:21]
	v_add_f64 v[20:21], v[36:37], v[20:21]
	v_fma_f64 v[32:33], v[54:55], s[40:41], v[24:25]
	v_add_f64 v[22:23], v[38:39], v[22:23]
	v_mul_f64 v[36:37], v[80:81], s[8:9]
	v_fma_f64 v[24:25], v[54:55], s[30:31], v[24:25]
	v_add_f64 v[20:21], v[42:43], v[20:21]
	v_add_f64 v[32:33], v[32:33], v[48:49]
	v_mul_f64 v[48:49], v[56:57], s[40:41]
	v_fma_f64 v[38:39], v[58:59], s[34:35], v[36:37]
	v_add_f64 v[22:23], v[50:51], v[22:23]
	v_mul_f64 v[42:43], v[100:101], s[20:21]
	v_fma_f64 v[36:37], v[58:59], s[4:5], v[36:37]
	v_add_f64 v[24:25], v[24:25], v[28:29]
	v_add_f64 v[20:21], v[86:87], v[20:21]
	v_fma_f64 v[110:111], v[52:53], s[38:39], -v[48:49]
	v_add_f64 v[32:33], v[38:39], v[32:33]
	v_mul_f64 v[38:39], v[64:65], s[34:35]
	v_fma_f64 v[50:51], v[66:67], s[16:17], v[42:43]
	v_add_f64 v[86:87], v[88:89], v[22:23]
	v_mul_f64 v[22:23], v[104:105], s[28:29]
	v_fma_f64 v[48:49], v[52:53], s[38:39], v[48:49]
	v_add_f64 v[24:25], v[36:37], v[24:25]
	v_add_f64 v[26:27], v[110:111], v[26:27]
	v_fma_f64 v[110:111], v[54:55], s[16:17], v[62:63]
	v_add_f64 v[32:33], v[50:51], v[32:33]
	v_mul_f64 v[50:51], v[82:83], s[16:17]
	v_fma_f64 v[88:89], v[94:95], s[42:43], v[22:23]
	v_add_f64 v[30:31], v[48:49], v[30:31]
	v_fma_f64 v[22:23], v[94:95], s[24:25], v[22:23]
	v_add_f64 v[44:45], v[110:111], v[44:45]
	v_fma_f64 v[110:111], v[60:61], s[8:9], -v[38:39]
	v_fma_f64 v[38:39], v[60:61], s[8:9], v[38:39]
	v_add_f64 v[32:33], v[88:89], v[32:33]
	v_mul_f64 v[88:89], v[98:99], s[42:43]
	v_add_f64 v[26:27], v[110:111], v[26:27]
	v_fma_f64 v[110:111], v[84:85], s[20:21], -v[50:51]
	v_add_f64 v[30:31], v[38:39], v[30:31]
	v_fma_f64 v[38:39], v[96:97], s[28:29], v[88:89]
	v_add_f64 v[26:27], v[110:111], v[26:27]
	v_fma_f64 v[110:111], v[96:97], s[28:29], -v[88:89]
	v_add_f64 v[110:111], v[110:111], v[26:27]
	v_mul_f64 v[26:27], v[56:57], s[36:37]
	v_fma_f64 v[56:57], v[52:53], s[20:21], v[26:27]
	v_fma_f64 v[26:27], v[52:53], s[20:21], -v[26:27]
	v_add_f64 v[40:41], v[56:57], v[40:41]
	v_fma_f64 v[56:57], v[54:55], s[36:37], v[62:63]
	v_add_f64 v[26:27], v[26:27], v[34:35]
	v_mul_f64 v[34:35], v[100:101], s[28:29]
	v_mul_f64 v[54:55], v[98:99], s[34:35]
	v_add_f64 v[46:47], v[56:57], v[46:47]
	v_mul_f64 v[56:57], v[80:81], s[10:11]
	v_fma_f64 v[62:63], v[58:59], s[44:45], v[56:57]
	v_fma_f64 v[56:57], v[58:59], s[6:7], v[56:57]
	v_add_f64 v[44:45], v[62:63], v[44:45]
	v_mul_f64 v[62:63], v[64:65], s[6:7]
	v_add_f64 v[46:47], v[56:57], v[46:47]
	v_fma_f64 v[56:57], v[66:67], s[24:25], v[34:35]
	v_fma_f64 v[34:35], v[66:67], s[42:43], v[34:35]
	;; [unrolled: 1-line block ×3, first 2 shown]
	v_add_f64 v[44:45], v[56:57], v[44:45]
	v_add_f64 v[34:35], v[34:35], v[46:47]
	v_fma_f64 v[46:47], v[60:61], s[10:11], -v[62:63]
	v_mul_f64 v[56:57], v[82:83], s[42:43]
	v_add_f64 v[40:41], v[64:65], v[40:41]
	v_add_f64 v[26:27], v[46:47], v[26:27]
	v_mul_f64 v[46:47], v[104:105], s[8:9]
	v_fma_f64 v[36:37], v[84:85], s[28:29], -v[56:57]
	v_fma_f64 v[64:65], v[84:85], s[28:29], v[56:57]
	v_fma_f64 v[28:29], v[94:95], s[34:35], v[46:47]
	v_add_f64 v[26:27], v[36:37], v[26:27]
	v_fma_f64 v[62:63], v[94:95], s[4:5], v[46:47]
	v_fma_f64 v[36:37], v[84:85], s[20:21], v[50:51]
	v_mul_f64 v[50:51], v[106:107], s[44:45]
	v_mul_f64 v[46:47], v[114:115], s[22:23]
	v_add_f64 v[40:41], v[64:65], v[40:41]
	v_add_f64 v[28:29], v[28:29], v[34:35]
	v_fma_f64 v[34:35], v[66:67], s[36:37], v[42:43]
	v_mul_f64 v[42:43], v[114:115], s[10:11]
	v_add_f64 v[44:45], v[62:63], v[44:45]
	v_fma_f64 v[62:63], v[96:97], s[8:9], v[54:55]
	v_add_f64 v[30:31], v[36:37], v[30:31]
	v_fma_f64 v[48:49], v[102:103], s[26:27], v[46:47]
	v_fma_f64 v[46:47], v[102:103], s[18:19], v[46:47]
	v_add_f64 v[24:25], v[34:35], v[24:25]
	v_fma_f64 v[34:35], v[96:97], s[8:9], -v[54:55]
	v_fma_f64 v[36:37], v[102:103], s[44:45], v[42:43]
	v_add_f64 v[40:41], v[62:63], v[40:41]
	v_fma_f64 v[42:43], v[102:103], s[6:7], v[42:43]
	v_add_f64 v[58:59], v[38:39], v[30:31]
	v_add_f64 v[30:31], v[46:47], v[28:29]
	;; [unrolled: 1-line block ×4, first 2 shown]
	v_mul_f64 v[26:27], v[106:107], s[18:19]
	v_fma_f64 v[24:25], v[108:109], s[10:11], -v[50:51]
	v_fma_f64 v[50:51], v[108:109], s[10:11], v[50:51]
	v_add_f64 v[22:23], v[90:91], v[20:21]
	v_add_f64 v[20:21], v[92:93], v[86:87]
	v_add_f64 v[38:39], v[42:43], v[52:53]
	v_fma_f64 v[54:55], v[108:109], s[22:23], -v[26:27]
	v_fma_f64 v[56:57], v[108:109], s[22:23], v[26:27]
	v_add_f64 v[26:27], v[36:37], v[32:33]
	v_add_f64 v[24:25], v[24:25], v[110:111]
	;; [unrolled: 1-line block ×5, first 2 shown]
	v_mul_lo_u16 v40, v217, 13
	v_add_f64 v[34:35], v[48:49], v[44:45]
	v_and_b32_e32 v40, 0xffff, v40
	v_add_lshl_u32 v40, v185, v40, 4
	ds_write_b128 v40, v[4:7]
	ds_write_b128 v40, v[12:15] offset:16
	ds_write_b128 v40, v[16:19] offset:32
	;; [unrolled: 1-line block ×12, first 2 shown]
.LBB0_7:
	s_or_b32 exec_lo, exec_lo, s33
	s_load_dwordx4 s[4:7], s[0:1], 0x0
	v_and_b32_e32 v0, 0xff, v217
	v_add_co_u32 v124, s0, 0x5b, v217
	v_add_co_u32 v2, null, 0xb6, v217
	v_mul_lo_u16 v1, 0x4f, v0
	v_and_b32_e32 v0, 0xff, v124
	v_mov_b32_e32 v3, 0x4ec5
	v_add_co_u32 v4, null, 0x111, v217
	v_lshrrev_b16 v94, 10, v1
	v_mul_lo_u16 v0, 0x4f, v0
	v_mul_u32_u24_sdwa v5, v2, v3 dst_sel:DWORD dst_unused:UNUSED_PAD src0_sel:WORD_0 src1_sel:DWORD
	v_add_co_u32 v6, null, 0x16c, v217
	v_mul_u32_u24_sdwa v8, v4, v3 dst_sel:DWORD dst_unused:UNUSED_PAD src0_sel:WORD_0 src1_sel:DWORD
	v_lshrrev_b16 v95, 10, v0
	v_mul_lo_u16 v7, v94, 13
	v_lshrrev_b32_e32 v96, 18, v5
	v_mul_u32_u24_sdwa v3, v6, v3 dst_sel:DWORD dst_unused:UNUSED_PAD src0_sel:WORD_0 src1_sel:DWORD
	v_lshrrev_b32_e32 v98, 18, v8
	v_mul_lo_u16 v5, v95, 13
	v_sub_nc_u16 v97, v217, v7
	v_mul_lo_u16 v7, v96, 13
	v_lshrrev_b32_e32 v99, 18, v3
	v_mov_b32_e32 v3, 4
	v_sub_nc_u16 v100, v124, v5
	v_mul_lo_u16 v5, v98, 13
	v_sub_nc_u16 v101, v2, v7
	v_mul_lo_u16 v2, v99, 13
	v_lshlrev_b32_sdwa v7, v3, v97 dst_sel:DWORD dst_unused:UNUSED_PAD src0_sel:DWORD src1_sel:BYTE_0
	v_lshlrev_b32_sdwa v8, v3, v100 dst_sel:DWORD dst_unused:UNUSED_PAD src0_sel:DWORD src1_sel:BYTE_0
	v_sub_nc_u16 v102, v4, v5
	v_lshlrev_b32_sdwa v4, v3, v101 dst_sel:DWORD dst_unused:UNUSED_PAD src0_sel:DWORD src1_sel:WORD_0
	v_sub_nc_u16 v103, v6, v2
	s_waitcnt lgkmcnt(0)
	s_barrier
	v_lshlrev_b32_sdwa v2, v3, v102 dst_sel:DWORD dst_unused:UNUSED_PAD src0_sel:DWORD src1_sel:WORD_0
	buffer_gl0_inv
	v_lshlrev_b32_sdwa v3, v3, v103 dst_sel:DWORD dst_unused:UNUSED_PAD src0_sel:DWORD src1_sel:WORD_0
	s_clause 0x4
	global_load_dwordx4 v[40:43], v7, s[2:3]
	global_load_dwordx4 v[28:31], v8, s[2:3]
	global_load_dwordx4 v[32:35], v4, s[2:3]
	global_load_dwordx4 v[36:39], v2, s[2:3]
	global_load_dwordx4 v[24:27], v3, s[2:3]
	v_add_lshl_u32 v168, v185, v217, 4
	ds_read_b128 v[2:5], v168 offset:7280
	ds_read_b128 v[6:9], v168 offset:10192
	;; [unrolled: 1-line block ×6, first 2 shown]
	ds_read_b128 v[48:51], v168
	ds_read_b128 v[52:55], v168 offset:1456
	ds_read_b128 v[56:59], v168 offset:2912
	;; [unrolled: 1-line block ×3, first 2 shown]
	s_waitcnt vmcnt(0) lgkmcnt(0)
	s_barrier
	buffer_gl0_inv
	v_add_co_ci_u32_e64 v125, null, 0, 0, s0
	v_cmp_gt_u16_e64 s0, 39, v217
                                        ; implicit-def: $vgpr120_vgpr121
	v_mul_f64 v[22:23], v[4:5], v[42:43]
	v_mul_f64 v[64:65], v[2:3], v[42:43]
	v_mul_f64 v[80:81], v[12:13], v[30:31]
	v_mul_f64 v[82:83], v[10:11], v[30:31]
	v_mul_f64 v[66:67], v[8:9], v[34:35]
	v_mul_f64 v[84:85], v[6:7], v[34:35]
	v_mul_f64 v[86:87], v[16:17], v[38:39]
	v_mul_f64 v[88:89], v[14:15], v[38:39]
	v_mul_f64 v[90:91], v[20:21], v[26:27]
	v_mul_f64 v[92:93], v[18:19], v[26:27]
	v_fma_f64 v[2:3], v[2:3], v[40:41], -v[22:23]
	v_fma_f64 v[4:5], v[4:5], v[40:41], v[64:65]
	v_fma_f64 v[10:11], v[10:11], v[28:29], -v[80:81]
	v_fma_f64 v[12:13], v[12:13], v[28:29], v[82:83]
	v_fma_f64 v[6:7], v[6:7], v[32:33], -v[66:67]
	v_fma_f64 v[8:9], v[8:9], v[32:33], v[84:85]
	v_fma_f64 v[14:15], v[14:15], v[36:37], -v[86:87]
	v_fma_f64 v[16:17], v[16:17], v[36:37], v[88:89]
	v_fma_f64 v[18:19], v[18:19], v[24:25], -v[90:91]
	v_fma_f64 v[20:21], v[20:21], v[24:25], v[92:93]
	v_mov_b32_e32 v22, 26
	v_mad_u16 v64, v96, 26, v101
	v_mad_u16 v65, v98, 26, v102
	v_add_f64 v[2:3], v[48:49], -v[2:3]
	v_add_f64 v[4:5], v[50:51], -v[4:5]
	;; [unrolled: 1-line block ×10, first 2 shown]
	v_mul_u32_u24_sdwa v14, v94, v22 dst_sel:DWORD dst_unused:UNUSED_PAD src0_sel:WORD_0 src1_sel:DWORD
	v_mul_u32_u24_sdwa v22, v95, v22 dst_sel:DWORD dst_unused:UNUSED_PAD src0_sel:WORD_0 src1_sel:DWORD
	v_add_nc_u32_sdwa v23, v14, v97 dst_sel:DWORD dst_unused:UNUSED_PAD src0_sel:DWORD src1_sel:BYTE_0
	v_add_nc_u32_sdwa v22, v22, v100 dst_sel:DWORD dst_unused:UNUSED_PAD src0_sel:DWORD src1_sel:BYTE_0
	v_fma_f64 v[14:15], v[48:49], 2.0, -v[2:3]
	v_fma_f64 v[16:17], v[50:51], 2.0, -v[4:5]
	;; [unrolled: 1-line block ×10, first 2 shown]
	v_mad_u16 v44, v99, 26, v103
	v_add_lshl_u32 v56, v185, v23, 4
	v_and_b32_e32 v23, 0xffff, v64
	v_and_b32_e32 v45, 0xffff, v65
	v_add_lshl_u32 v47, v185, v22, 4
	v_and_b32_e32 v44, 0xffff, v44
	ds_write_b128 v56, v[2:5] offset:208
	v_add_lshl_u32 v46, v185, v23, 4
	v_add_lshl_u32 v23, v185, v45, 4
	buffer_store_dword v56, off, s[48:51], 0 offset:32 ; 4-byte Folded Spill
	v_add_lshl_u32 v22, v185, v44, 4
	ds_write_b128 v56, v[14:17]
	ds_write_b128 v47, v[10:13] offset:208
	buffer_store_dword v47, off, s[48:51], 0 offset:28 ; 4-byte Folded Spill
	ds_write_b128 v47, v[48:51]
	ds_write_b128 v46, v[18:21]
	buffer_store_dword v46, off, s[48:51], 0 offset:24 ; 4-byte Folded Spill
	ds_write_b128 v46, v[6:9] offset:208
	ds_write_b128 v23, v[52:55]
	buffer_store_dword v23, off, s[48:51], 0 offset:20 ; 4-byte Folded Spill
	ds_write_b128 v23, v[80:83] offset:208
	;; [unrolled: 3-line block ×3, first 2 shown]
	s_waitcnt lgkmcnt(0)
	s_waitcnt_vscnt null, 0x0
	s_barrier
	buffer_gl0_inv
	ds_read_b128 v[84:87], v168
	ds_read_b128 v[112:115], v168 offset:2080
	ds_read_b128 v[108:111], v168 offset:4160
	;; [unrolled: 1-line block ×6, first 2 shown]
	s_and_saveexec_b32 s1, s0
	s_cbranch_execz .LBB0_9
; %bb.8:
	ds_read_b128 v[80:83], v168 offset:1456
	ds_read_b128 v[92:95], v168 offset:3536
	;; [unrolled: 1-line block ×7, first 2 shown]
.LBB0_9:
	s_or_b32 exec_lo, exec_lo, s1
	v_lshrrev_b16 v126, 11, v1
	v_lshrrev_b16 v0, 11, v0
	s_mov_b32 s8, 0x36b3c0b5
	s_mov_b32 s9, 0x3fac98ee
	;; [unrolled: 1-line block ×3, first 2 shown]
	v_mul_lo_u16 v1, v126, 26
	v_mul_lo_u16 v2, v0, 26
	buffer_store_dword v0, off, s[48:51], 0 offset:8 ; 4-byte Folded Spill
	s_mov_b32 s24, 0xe976ee23
	s_mov_b32 s10, 0x429ad128
	v_sub_nc_u16 v1, v217, v1
	v_sub_nc_u16 v2, v124, v2
	s_mov_b32 s22, 0x5476071b
	s_mov_b32 s19, 0x3fe948f6
	;; [unrolled: 1-line block ×3, first 2 shown]
	v_and_b32_e32 v167, 0xff, v1
	v_and_b32_e32 v2, 0xff, v2
	s_mov_b32 s11, 0x3febfeb5
	s_mov_b32 s23, 0x3fe77f67
	;; [unrolled: 1-line block ×3, first 2 shown]
	v_mad_u64_u32 v[0:1], null, 0x60, v167, s[2:3]
	v_mad_u64_u32 v[20:21], null, 0x60, v2, s[2:3]
	s_mov_b32 s28, 0xb247c609
	s_mov_b32 s17, 0xbff2aaaa
	;; [unrolled: 1-line block ×4, first 2 shown]
	s_clause 0x1
	global_load_dwordx4 v[60:63], v[0:1], off offset:208
	global_load_dwordx4 v[52:55], v[0:1], off offset:224
	buffer_store_dword v2, off, s[48:51], 0 offset:12 ; 4-byte Folded Spill
	s_clause 0x9
	global_load_dwordx4 v[44:47], v[0:1], off offset:240
	global_load_dwordx4 v[64:67], v[0:1], off offset:288
	global_load_dwordx4 v[56:59], v[0:1], off offset:272
	global_load_dwordx4 v[48:51], v[0:1], off offset:256
	global_load_dwordx4 v[8:11], v[20:21], off offset:208
	global_load_dwordx4 v[4:7], v[20:21], off offset:224
	global_load_dwordx4 v[0:3], v[20:21], off offset:240
	global_load_dwordx4 v[16:19], v[20:21], off offset:288
	global_load_dwordx4 v[12:15], v[20:21], off offset:256
	global_load_dwordx4 v[20:23], v[20:21], off offset:272
	s_mov_b32 s31, 0xbfd5d0dc
	s_mov_b32 s26, s22
	;; [unrolled: 1-line block ×5, first 2 shown]
	s_waitcnt vmcnt(0) lgkmcnt(0)
	s_waitcnt_vscnt null, 0x0
	s_barrier
	buffer_gl0_inv
	v_mul_f64 v[135:136], v[102:103], v[46:47]
	v_mul_f64 v[137:138], v[100:101], v[46:47]
	v_mul_f64 v[139:140], v[118:119], v[66:67]
	v_mul_f64 v[141:142], v[116:117], v[66:67]
	v_mul_f64 v[143:144], v[106:107], v[58:59]
	v_mul_f64 v[145:146], v[104:105], v[58:59]
	v_mul_f64 v[127:128], v[114:115], v[62:63]
	v_mul_f64 v[129:130], v[112:113], v[62:63]
	v_mul_f64 v[131:132], v[110:111], v[54:55]
	v_mul_f64 v[133:134], v[108:109], v[54:55]
	v_mul_f64 v[147:148], v[98:99], v[50:51]
	v_mul_f64 v[149:150], v[96:97], v[50:51]
	v_mul_f64 v[151:152], v[94:95], v[10:11]
	v_mul_f64 v[153:154], v[92:93], v[10:11]
	v_mul_f64 v[155:156], v[90:91], v[6:7]
	v_mul_f64 v[157:158], v[88:89], v[6:7]
	v_mul_f64 v[163:164], v[122:123], v[18:19]
	v_mul_f64 v[165:166], v[120:121], v[18:19]
	v_mul_f64 v[173:174], v[78:79], v[22:23]
	v_mul_f64 v[175:176], v[76:77], v[22:23]
	v_mul_f64 v[159:160], v[70:71], v[2:3]
	v_mul_f64 v[161:162], v[68:69], v[2:3]
	v_mul_f64 v[169:170], v[74:75], v[14:15]
	v_mul_f64 v[171:172], v[72:73], v[14:15]
	v_fma_f64 v[116:117], v[116:117], v[64:65], -v[139:140]
	v_fma_f64 v[118:119], v[118:119], v[64:65], v[141:142]
	v_fma_f64 v[104:105], v[104:105], v[56:57], -v[143:144]
	v_fma_f64 v[106:107], v[106:107], v[56:57], v[145:146]
	;; [unrolled: 2-line block ×12, first 2 shown]
	v_add_f64 v[127:128], v[112:113], v[116:117]
	v_add_f64 v[129:130], v[114:115], v[118:119]
	v_add_f64 v[131:132], v[108:109], v[104:105]
	v_add_f64 v[133:134], v[110:111], v[106:107]
	v_add_f64 v[112:113], v[112:113], -v[116:117]
	v_add_f64 v[114:115], v[114:115], -v[118:119]
	v_add_f64 v[116:117], v[100:101], v[96:97]
	v_add_f64 v[118:119], v[102:103], v[98:99]
	v_add_f64 v[104:105], v[108:109], -v[104:105]
	v_add_f64 v[106:107], v[110:111], -v[106:107]
	;; [unrolled: 1-line block ×4, first 2 shown]
	v_add_f64 v[100:101], v[92:93], v[120:121]
	v_add_f64 v[102:103], v[94:95], v[122:123]
	;; [unrolled: 1-line block ×4, first 2 shown]
	v_add_f64 v[92:93], v[92:93], -v[120:121]
	v_add_f64 v[94:95], v[94:95], -v[122:123]
	;; [unrolled: 1-line block ×4, first 2 shown]
	v_add_f64 v[88:89], v[68:69], v[72:73]
	v_add_f64 v[90:91], v[70:71], v[74:75]
	v_add_f64 v[68:69], v[72:73], -v[68:69]
	v_add_f64 v[70:71], v[74:75], -v[70:71]
	v_add_f64 v[72:73], v[131:132], v[127:128]
	v_add_f64 v[74:75], v[133:134], v[129:130]
	v_add_f64 v[120:121], v[131:132], -v[127:128]
	v_add_f64 v[122:123], v[133:134], -v[129:130]
	;; [unrolled: 1-line block ×6, first 2 shown]
	v_add_f64 v[135:136], v[96:97], v[104:105]
	v_add_f64 v[137:138], v[98:99], v[106:107]
	v_add_f64 v[139:140], v[96:97], -v[104:105]
	v_add_f64 v[141:142], v[98:99], -v[106:107]
	v_add_f64 v[143:144], v[108:109], v[100:101]
	v_add_f64 v[145:146], v[110:111], v[102:103]
	v_add_f64 v[96:97], v[112:113], -v[96:97]
	v_add_f64 v[98:99], v[114:115], -v[98:99]
	;; [unrolled: 1-line block ×10, first 2 shown]
	v_add_f64 v[151:152], v[68:69], v[76:77]
	v_add_f64 v[153:154], v[70:71], v[78:79]
	v_add_f64 v[155:156], v[68:69], -v[76:77]
	v_add_f64 v[157:158], v[70:71], -v[78:79]
	v_add_f64 v[72:73], v[116:117], v[72:73]
	v_add_f64 v[74:75], v[118:119], v[74:75]
	v_add_f64 v[116:117], v[92:93], -v[68:69]
	v_add_f64 v[118:119], v[94:95], -v[70:71]
	;; [unrolled: 1-line block ×4, first 2 shown]
	v_add_f64 v[112:113], v[135:136], v[112:113]
	v_add_f64 v[114:115], v[137:138], v[114:115]
	v_mul_f64 v[68:69], v[131:132], s[8:9]
	v_mul_f64 v[70:71], v[133:134], s[8:9]
	v_add_f64 v[135:136], v[88:89], v[143:144]
	v_add_f64 v[137:138], v[90:91], v[145:146]
	v_mul_f64 v[127:128], v[127:128], s[18:19]
	v_mul_f64 v[129:130], v[129:130], s[18:19]
	;; [unrolled: 1-line block ×6, first 2 shown]
	v_add_f64 v[151:152], v[151:152], v[92:93]
	v_add_f64 v[93:94], v[153:154], v[94:95]
	v_mul_f64 v[100:101], v[100:101], s[18:19]
	v_mul_f64 v[102:103], v[102:103], s[18:19]
	v_add_f64 v[89:90], v[84:85], v[72:73]
	v_add_f64 v[91:92], v[86:87], v[74:75]
	v_mul_f64 v[84:85], v[108:109], s[8:9]
	v_mul_f64 v[86:87], v[110:111], s[8:9]
	;; [unrolled: 1-line block ×6, first 2 shown]
	v_fma_f64 v[161:162], v[120:121], s[22:23], -v[68:69]
	v_fma_f64 v[163:164], v[122:123], s[22:23], -v[70:71]
	v_add_f64 v[68:69], v[80:81], v[135:136]
	v_add_f64 v[70:71], v[82:83], v[137:138]
	v_fma_f64 v[131:132], v[131:132], s[8:9], v[127:128]
	v_fma_f64 v[133:134], v[133:134], s[8:9], v[129:130]
	v_fma_f64 v[80:81], v[120:121], s[26:27], -v[127:128]
	v_fma_f64 v[82:83], v[122:123], s[26:27], -v[129:130]
	v_fma_f64 v[120:121], v[96:97], s[28:29], v[139:140]
	v_fma_f64 v[122:123], v[98:99], s[28:29], v[141:142]
	v_fma_f64 v[104:105], v[104:105], s[10:11], -v[139:140]
	v_fma_f64 v[106:107], v[106:107], s[10:11], -v[141:142]
	;; [unrolled: 1-line block ×4, first 2 shown]
	v_fma_f64 v[72:73], v[72:73], s[16:17], v[89:90]
	v_fma_f64 v[74:75], v[74:75], s[16:17], v[91:92]
	;; [unrolled: 1-line block ×4, first 2 shown]
	v_fma_f64 v[84:85], v[147:148], s[22:23], -v[84:85]
	v_fma_f64 v[86:87], v[149:150], s[22:23], -v[86:87]
	;; [unrolled: 1-line block ×4, first 2 shown]
	v_fma_f64 v[127:128], v[116:117], s[28:29], v[153:154]
	v_fma_f64 v[129:130], v[118:119], s[28:29], v[155:156]
	v_fma_f64 v[76:77], v[76:77], s[10:11], -v[153:154]
	v_fma_f64 v[78:79], v[78:79], s[10:11], -v[155:156]
	v_fma_f64 v[135:136], v[135:136], s[16:17], v[68:69]
	v_fma_f64 v[137:138], v[137:138], s[16:17], v[70:71]
	v_fma_f64 v[116:117], v[116:117], s[30:31], -v[157:158]
	v_fma_f64 v[118:119], v[118:119], s[30:31], -v[159:160]
	v_fma_f64 v[139:140], v[112:113], s[20:21], v[120:121]
	v_fma_f64 v[141:142], v[114:115], s[20:21], v[122:123]
	v_fma_f64 v[103:104], v[112:113], s[20:21], v[104:105]
	v_fma_f64 v[105:106], v[114:115], s[20:21], v[106:107]
	v_fma_f64 v[112:113], v[112:113], s[20:21], v[95:96]
	v_fma_f64 v[97:98], v[114:115], s[20:21], v[97:98]
	v_add_f64 v[114:115], v[131:132], v[72:73]
	v_add_f64 v[143:144], v[133:134], v[74:75]
	;; [unrolled: 1-line block ×6, first 2 shown]
	v_mov_b32_e32 v88, 0xb6
	v_fma_f64 v[74:75], v[151:152], s[20:21], v[127:128]
	v_fma_f64 v[72:73], v[93:94], s[20:21], v[129:130]
	;; [unrolled: 1-line block ×4, first 2 shown]
	v_add_f64 v[155:156], v[84:85], v[135:136]
	v_add_f64 v[157:158], v[86:87], v[137:138]
	v_fma_f64 v[84:85], v[151:152], s[20:21], v[116:117]
	v_fma_f64 v[76:77], v[93:94], s[20:21], v[118:119]
	v_add_f64 v[78:79], v[99:100], v[135:136]
	v_add_f64 v[86:87], v[101:102], v[137:138]
	;; [unrolled: 1-line block ×5, first 2 shown]
	v_add_f64 v[135:136], v[114:115], -v[141:142]
	v_add_f64 v[95:96], v[143:144], -v[139:140]
	;; [unrolled: 1-line block ×4, first 2 shown]
	v_add_f64 v[122:123], v[103:104], v[147:148]
	v_add_f64 v[127:128], v[105:106], v[145:146]
	v_add_f64 v[129:130], v[147:148], -v[103:104]
	v_add_f64 v[133:134], v[112:113], v[133:134]
	v_add_f64 v[116:117], v[97:98], v[131:132]
	v_add_f64 v[131:132], v[131:132], -v[97:98]
	v_add_f64 v[137:138], v[139:140], v[143:144]
	v_add_f64 v[112:113], v[155:156], -v[153:154]
	v_add_f64 v[114:115], v[149:150], v[157:158]
	v_add_f64 v[108:109], v[153:154], v[155:156]
	v_add_f64 v[110:111], v[157:158], -v[149:150]
	v_add_f64 v[104:105], v[78:79], -v[76:77]
	v_add_f64 v[106:107], v[84:85], v[86:87]
	v_add_f64 v[100:101], v[80:81], -v[72:73]
	v_add_f64 v[102:103], v[74:75], v[82:83]
	v_mul_u32_u24_sdwa v97, v126, v88 dst_sel:DWORD dst_unused:UNUSED_PAD src0_sel:WORD_0 src1_sel:DWORD
	v_add_nc_u32_e32 v97, v97, v167
	v_add_lshl_u32 v251, v185, v97, 4
	ds_write_b128 v251, v[89:92]
	ds_write_b128 v251, v[93:96] offset:416
	ds_write_b128 v251, v[116:119] offset:832
	;; [unrolled: 1-line block ×6, first 2 shown]
	s_and_saveexec_b32 s1, s0
	s_cbranch_execz .LBB0_11
; %bb.10:
	v_add_f64 v[74:75], v[82:83], -v[74:75]
	v_add_f64 v[82:83], v[76:77], v[78:79]
	s_clause 0x1
	buffer_load_dword v76, off, s[48:51], 0 offset:8
	buffer_load_dword v77, off, s[48:51], 0 offset:12
	v_add_f64 v[72:73], v[72:73], v[80:81]
	v_add_f64 v[84:85], v[86:87], -v[84:85]
	s_waitcnt vmcnt(1)
	v_mul_u32_u24_sdwa v76, v76, v88 dst_sel:DWORD dst_unused:UNUSED_PAD src0_sel:WORD_0 src1_sel:DWORD
	s_waitcnt vmcnt(0)
	v_add_nc_u32_e32 v76, v76, v77
	v_add_lshl_u32 v76, v185, v76, 4
	ds_write_b128 v76, v[68:71]
	ds_write_b128 v76, v[112:115] offset:1248
	ds_write_b128 v76, v[108:111] offset:1664
	ds_write_b128 v76, v[104:107] offset:2080
	ds_write_b128 v76, v[72:75] offset:416
	ds_write_b128 v76, v[82:85] offset:832
	ds_write_b128 v76, v[100:103] offset:2496
.LBB0_11:
	s_or_b32 exec_lo, exec_lo, s1
	v_lshlrev_b32_e32 v68, 6, v217
	v_lshlrev_b64 v[72:73], 6, v[124:125]
	s_waitcnt lgkmcnt(0)
	s_barrier
	buffer_gl0_inv
	v_add_co_u32 v70, s1, s2, v68
	v_add_co_ci_u32_e64 v71, null, s3, 0, s1
	s_mov_b32 s8, 0x134454ff
	v_add_co_u32 v68, s1, 0x800, v70
	v_add_co_ci_u32_e64 v69, s1, 0, v71, s1
	v_add_co_u32 v70, s1, 0xa90, v70
	v_add_co_ci_u32_e64 v71, s1, 0, v71, s1
	;; [unrolled: 2-line block ×3, first 2 shown]
	s_clause 0x2
	global_load_dwordx4 v[92:95], v[68:69], off offset:656
	global_load_dwordx4 v[84:87], v[70:71], off offset:32
	;; [unrolled: 1-line block ×3, first 2 shown]
	v_add_co_u32 v68, s1, 0x800, v72
	v_add_co_ci_u32_e64 v69, s1, 0, v73, s1
	v_add_co_u32 v72, s1, 0xa90, v72
	v_add_co_ci_u32_e64 v73, s1, 0, v73, s1
	s_clause 0x4
	global_load_dwordx4 v[88:91], v[70:71], off offset:48
	global_load_dwordx4 v[68:71], v[68:69], off offset:656
	;; [unrolled: 1-line block ×5, first 2 shown]
	ds_read_b128 v[116:119], v168 offset:2912
	ds_read_b128 v[120:123], v168 offset:5824
	;; [unrolled: 1-line block ×8, first 2 shown]
	s_mov_b32 s9, 0x3fee6f0e
	s_mov_b32 s17, 0xbfee6f0e
	;; [unrolled: 1-line block ×7, first 2 shown]
	v_lshl_add_u32 v255, v217, 4, v218
	s_waitcnt vmcnt(7) lgkmcnt(7)
	v_mul_f64 v[148:149], v[118:119], v[94:95]
	v_mul_f64 v[150:151], v[116:117], v[94:95]
	s_waitcnt vmcnt(5) lgkmcnt(6)
	v_mul_f64 v[152:153], v[122:123], v[98:99]
	v_mul_f64 v[154:155], v[120:121], v[98:99]
	s_waitcnt lgkmcnt(5)
	v_mul_f64 v[156:157], v[126:127], v[86:87]
	v_mul_f64 v[160:161], v[124:125], v[86:87]
	s_waitcnt vmcnt(3) lgkmcnt(3)
	v_mul_f64 v[164:165], v[134:135], v[70:71]
	v_mul_f64 v[158:159], v[128:129], v[90:91]
	v_mul_f64 v[162:163], v[130:131], v[90:91]
	v_mul_f64 v[166:167], v[132:133], v[70:71]
	s_waitcnt vmcnt(2) lgkmcnt(2)
	v_mul_f64 v[169:170], v[138:139], v[82:83]
	v_mul_f64 v[171:172], v[136:137], v[82:83]
	s_waitcnt vmcnt(1) lgkmcnt(1)
	v_mul_f64 v[173:174], v[142:143], v[78:79]
	v_mul_f64 v[175:176], v[140:141], v[78:79]
	;; [unrolled: 3-line block ×3, first 2 shown]
	v_fma_f64 v[148:149], v[116:117], v[92:93], -v[148:149]
	v_fma_f64 v[150:151], v[118:119], v[92:93], v[150:151]
	v_fma_f64 v[152:153], v[120:121], v[96:97], -v[152:153]
	v_fma_f64 v[154:155], v[122:123], v[96:97], v[154:155]
	;; [unrolled: 2-line block ×3, first 2 shown]
	ds_read_b128 v[116:119], v168
	ds_read_b128 v[120:123], v168 offset:1456
	buffer_store_dword v217, off, s[48:51], 0 offset:36 ; 4-byte Folded Spill
	buffer_store_dword v218, off, s[48:51], 0 offset:4 ; 4-byte Folded Spill
	v_fma_f64 v[132:133], v[132:133], v[68:69], -v[164:165]
	v_fma_f64 v[130:131], v[130:131], v[88:89], v[158:159]
	v_fma_f64 v[128:129], v[128:129], v[88:89], -v[162:163]
	v_fma_f64 v[134:135], v[134:135], v[68:69], v[166:167]
	v_fma_f64 v[136:137], v[136:137], v[80:81], -v[169:170]
	v_fma_f64 v[138:139], v[138:139], v[80:81], v[171:172]
	v_fma_f64 v[140:141], v[140:141], v[76:77], -v[173:174]
	v_fma_f64 v[142:143], v[142:143], v[76:77], v[175:176]
	v_fma_f64 v[144:145], v[144:145], v[72:73], -v[177:178]
	v_fma_f64 v[146:147], v[146:147], v[72:73], v[179:180]
	v_add_f64 v[164:165], v[148:149], -v[152:153]
	v_add_f64 v[171:172], v[152:153], -v[148:149]
	s_waitcnt lgkmcnt(1)
	v_add_f64 v[156:157], v[116:117], v[148:149]
	v_add_f64 v[158:159], v[152:153], v[124:125]
	;; [unrolled: 1-line block ×3, first 2 shown]
	v_add_f64 v[162:163], v[154:155], -v[126:127]
	v_add_f64 v[175:176], v[118:119], v[150:151]
	v_add_f64 v[179:180], v[152:153], -v[124:125]
	v_add_f64 v[181:182], v[150:151], -v[154:155]
	v_add_f64 v[185:186], v[150:151], v[130:131]
	v_add_f64 v[166:167], v[128:129], -v[124:125]
	v_add_f64 v[169:170], v[148:149], v[128:129]
	v_add_f64 v[160:161], v[150:151], -v[130:131]
	v_add_f64 v[173:174], v[124:125], -v[128:129]
	v_add_f64 v[189:190], v[136:137], v[140:141]
	v_add_f64 v[197:198], v[138:139], v[142:143]
	;; [unrolled: 1-line block ×4, first 2 shown]
	v_add_f64 v[148:149], v[148:149], -v[128:129]
	v_add_f64 v[183:184], v[130:131], -v[126:127]
	;; [unrolled: 1-line block ×4, first 2 shown]
	s_waitcnt lgkmcnt(0)
	v_add_f64 v[191:192], v[120:121], v[132:133]
	v_add_f64 v[195:196], v[134:135], -v[146:147]
	v_add_f64 v[201:202], v[138:139], -v[142:143]
	;; [unrolled: 1-line block ×5, first 2 shown]
	v_add_f64 v[211:212], v[122:123], v[134:135]
	v_add_f64 v[132:133], v[132:133], -v[144:145]
	v_add_f64 v[213:214], v[136:137], -v[140:141]
	v_fma_f64 v[158:159], v[158:159], -0.5, v[116:117]
	v_fma_f64 v[177:178], v[177:178], -0.5, v[118:119]
	;; [unrolled: 1-line block ×4, first 2 shown]
	v_add_f64 v[152:153], v[156:157], v[152:153]
	v_fma_f64 v[189:190], v[189:190], -0.5, v[120:121]
	v_add_f64 v[156:157], v[164:165], v[166:167]
	v_fma_f64 v[120:121], v[193:194], -0.5, v[120:121]
	v_fma_f64 v[164:165], v[197:198], -0.5, v[122:123]
	;; [unrolled: 1-line block ×3, first 2 shown]
	v_add_f64 v[209:210], v[140:141], -v[144:145]
	v_add_f64 v[215:216], v[134:135], -v[138:139]
	v_add_f64 v[169:170], v[146:147], -v[142:143]
	v_add_f64 v[134:135], v[138:139], -v[134:135]
	v_add_f64 v[185:186], v[142:143], -v[146:147]
	v_add_f64 v[166:167], v[171:172], v[173:174]
	v_add_f64 v[154:155], v[175:176], v[154:155]
	;; [unrolled: 1-line block ×7, first 2 shown]
	v_fma_f64 v[150:151], v[160:161], s[8:9], v[158:159]
	v_fma_f64 v[158:159], v[160:161], s[16:17], v[158:159]
	v_fma_f64 v[183:184], v[162:163], s[16:17], v[116:117]
	v_fma_f64 v[116:117], v[162:163], s[8:9], v[116:117]
	v_fma_f64 v[187:188], v[148:149], s[16:17], v[177:178]
	v_fma_f64 v[177:178], v[148:149], s[8:9], v[177:178]
	v_fma_f64 v[191:192], v[179:180], s[8:9], v[118:119]
	v_fma_f64 v[118:119], v[179:180], s[16:17], v[118:119]
	v_fma_f64 v[193:194], v[195:196], s[8:9], v[189:190]
	v_fma_f64 v[189:190], v[195:196], s[16:17], v[189:190]
	v_fma_f64 v[197:198], v[201:202], s[16:17], v[120:121]
	v_fma_f64 v[120:121], v[201:202], s[8:9], v[120:121]
	v_fma_f64 v[199:200], v[132:133], s[16:17], v[164:165]
	v_fma_f64 v[203:204], v[213:214], s[8:9], v[122:123]
	v_fma_f64 v[122:123], v[213:214], s[16:17], v[122:123]
	v_fma_f64 v[164:165], v[132:133], s[8:9], v[164:165]
	v_add_f64 v[181:182], v[207:208], v[209:210]
	v_add_f64 v[169:170], v[215:216], v[169:170]
	;; [unrolled: 1-line block ×7, first 2 shown]
	v_fma_f64 v[140:141], v[162:163], s[2:3], v[150:151]
	v_fma_f64 v[142:143], v[162:163], s[10:11], v[158:159]
	v_fma_f64 v[154:155], v[160:161], s[2:3], v[183:184]
	v_fma_f64 v[158:159], v[160:161], s[10:11], v[116:117]
	v_fma_f64 v[162:163], v[179:180], s[10:11], v[187:188]
	v_fma_f64 v[177:178], v[179:180], s[2:3], v[177:178]
	v_fma_f64 v[179:180], v[148:149], s[10:11], v[191:192]
	v_fma_f64 v[183:184], v[148:149], s[2:3], v[118:119]
	v_fma_f64 v[185:186], v[201:202], s[2:3], v[193:194]
	v_fma_f64 v[187:188], v[201:202], s[10:11], v[189:190]
	v_fma_f64 v[189:190], v[195:196], s[2:3], v[197:198]
	v_fma_f64 v[120:121], v[195:196], s[10:11], v[120:121]
	v_fma_f64 v[191:192], v[213:214], s[10:11], v[199:200]
	v_fma_f64 v[193:194], v[132:133], s[10:11], v[203:204]
	v_fma_f64 v[122:123], v[132:133], s[2:3], v[122:123]
	v_fma_f64 v[132:133], v[213:214], s[2:3], v[164:165]
	s_mov_b32 s2, 0x372fe950
	s_mov_b32 s3, 0x3fd3c6ef
	v_add_f64 v[116:117], v[124:125], v[128:129]
	v_add_f64 v[118:119], v[126:127], v[130:131]
	;; [unrolled: 1-line block ×4, first 2 shown]
	v_fma_f64 v[164:165], v[156:157], s[2:3], v[140:141]
	v_fma_f64 v[152:153], v[156:157], s[2:3], v[142:143]
	;; [unrolled: 1-line block ×16, first 2 shown]
	ds_write_b128 v255, v[116:119]
	ds_write_b128 v255, v[148:151] offset:1456
	ds_write_b128 v255, v[164:167] offset:2912
	;; [unrolled: 1-line block ×9, first 2 shown]
	s_waitcnt lgkmcnt(0)
	s_waitcnt_vscnt null, 0x0
	s_barrier
	buffer_gl0_inv
	s_and_saveexec_b32 s2, vcc_lo
	s_cbranch_execz .LBB0_13
; %bb.12:
	buffer_load_dword v120, off, s[48:51], 0 ; 4-byte Folded Reload
	s_waitcnt vmcnt(0)
	v_add_co_u32 v201, s1, s14, v120
	v_add_co_ci_u32_e64 v202, null, s15, 0, s1
	v_add_co_u32 v120, s1, 0x3800, v201
	v_add_co_ci_u32_e64 v121, s1, 0, v202, s1
	v_add_co_u32 v132, s1, 0x38e0, v201
	v_add_co_ci_u32_e64 v133, s1, 0, v202, s1
	global_load_dwordx4 v[120:123], v[120:121], off offset:224
	v_add_co_u32 v169, s1, 0x4000, v201
	global_load_dwordx4 v[132:135], v[132:133], off offset:1120
	v_add_co_ci_u32_e64 v170, s1, 0, v202, s1
	s_clause 0x1
	global_load_dwordx4 v[136:139], v[169:170], off offset:416
	global_load_dwordx4 v[169:172], v[169:170], off offset:1536
	v_add_co_u32 v177, s1, 0x4800, v201
	v_add_co_ci_u32_e64 v178, s1, 0, v202, s1
	v_add_co_u32 v185, s1, 0x5000, v201
	v_add_co_ci_u32_e64 v186, s1, 0, v202, s1
	s_clause 0x3
	global_load_dwordx4 v[173:176], v[177:178], off offset:608
	global_load_dwordx4 v[177:180], v[177:178], off offset:1728
	;; [unrolled: 1-line block ×4, first 2 shown]
	v_add_co_u32 v189, s1, 0x5800, v201
	v_add_co_ci_u32_e64 v190, s1, 0, v202, s1
	v_add_co_u32 v197, s1, 0x6000, v201
	v_add_co_ci_u32_e64 v198, s1, 0, v202, s1
	s_clause 0x2
	global_load_dwordx4 v[189:192], v[189:190], off offset:992
	global_load_dwordx4 v[193:196], v[197:198], off offset:64
	global_load_dwordx4 v[197:200], v[197:198], off offset:1184
	v_add_co_u32 v205, s1, 0x6800, v201
	v_add_co_ci_u32_e64 v206, s1, 0, v202, s1
	s_clause 0x1
	global_load_dwordx4 v[201:204], v[205:206], off offset:256
	global_load_dwordx4 v[205:208], v[205:206], off offset:1376
	ds_read_b128 v[209:212], v255
	ds_read_b128 v[213:216], v255 offset:1120
	ds_read_b128 v[217:220], v255 offset:2240
	s_waitcnt vmcnt(12) lgkmcnt(2)
	v_mul_f64 v[221:222], v[211:212], v[122:123]
	v_mul_f64 v[122:123], v[209:210], v[122:123]
	s_waitcnt vmcnt(11) lgkmcnt(1)
	v_mul_f64 v[223:224], v[215:216], v[134:135]
	v_mul_f64 v[134:135], v[213:214], v[134:135]
	v_fma_f64 v[209:210], v[209:210], v[120:121], -v[221:222]
	v_fma_f64 v[211:212], v[211:212], v[120:121], v[122:123]
	ds_read_b128 v[120:123], v255 offset:3360
	s_waitcnt vmcnt(10) lgkmcnt(1)
	v_mul_f64 v[221:222], v[219:220], v[138:139]
	v_mul_f64 v[138:139], v[217:218], v[138:139]
	v_fma_f64 v[213:214], v[213:214], v[132:133], -v[223:224]
	v_fma_f64 v[215:216], v[215:216], v[132:133], v[134:135]
	ds_read_b128 v[132:135], v255 offset:4480
	;; [unrolled: 6-line block ×10, first 2 shown]
	s_waitcnt vmcnt(1) lgkmcnt(1)
	v_mul_f64 v[223:224], v[191:192], v[203:204]
	v_mul_f64 v[203:204], v[189:190], v[203:204]
	v_fma_f64 v[185:186], v[185:186], v[197:198], -v[221:222]
	v_fma_f64 v[187:188], v[187:188], v[197:198], v[199:200]
	s_waitcnt vmcnt(0) lgkmcnt(0)
	v_mul_f64 v[197:198], v[195:196], v[207:208]
	v_mul_f64 v[199:200], v[193:194], v[207:208]
	v_fma_f64 v[189:190], v[189:190], v[201:202], -v[223:224]
	v_fma_f64 v[191:192], v[191:192], v[201:202], v[203:204]
	v_fma_f64 v[193:194], v[193:194], v[205:206], -v[197:198]
	v_fma_f64 v[195:196], v[195:196], v[205:206], v[199:200]
	ds_write_b128 v255, v[209:212]
	ds_write_b128 v255, v[213:216] offset:1120
	ds_write_b128 v255, v[217:220] offset:2240
	;; [unrolled: 1-line block ×12, first 2 shown]
.LBB0_13:
	s_or_b32 exec_lo, exec_lo, s2
	s_waitcnt lgkmcnt(0)
	s_barrier
	buffer_gl0_inv
	s_and_saveexec_b32 s1, vcc_lo
	s_cbranch_execz .LBB0_15
; %bb.14:
	ds_read_b128 v[116:119], v255
	ds_read_b128 v[164:167], v255 offset:1120
	ds_read_b128 v[160:163], v255 offset:2240
	;; [unrolled: 1-line block ×12, first 2 shown]
.LBB0_15:
	s_or_b32 exec_lo, exec_lo, s1
	s_waitcnt lgkmcnt(0)
	v_add_f64 v[185:186], v[166:167], -v[106:107]
	s_mov_b32 s24, 0x4267c47c
	s_mov_b32 s25, 0xbfddbe06
	v_add_f64 v[171:172], v[162:163], -v[110:111]
	v_add_f64 v[229:230], v[166:167], v[106:107]
	s_mov_b32 s2, 0xe00740e9
	s_mov_b32 s8, 0x42a4c3d2
	;; [unrolled: 1-line block ×4, first 2 shown]
	v_add_f64 v[183:184], v[164:165], v[104:105]
	v_add_f64 v[169:170], v[160:161], v[108:109]
	v_add_f64 v[225:226], v[164:165], -v[104:105]
	s_mov_b32 s10, 0x1ea71119
	s_mov_b32 s11, 0x3fe22d96
	v_add_f64 v[175:176], v[162:163], v[110:111]
	v_add_f64 v[189:190], v[160:161], -v[108:109]
	v_add_f64 v[177:178], v[158:159], -v[114:115]
	s_mov_b32 s22, 0x66966769
	s_mov_b32 s23, 0xbfefc445
	v_add_f64 v[173:174], v[156:157], v[112:113]
	s_mov_b32 s16, 0xebaa3ed8
	s_mov_b32 s17, 0x3fbedb7d
	v_mul_f64 v[120:121], v[185:186], s[24:25]
	v_add_f64 v[181:182], v[158:159], v[114:115]
	v_add_f64 v[191:192], v[156:157], -v[112:113]
	v_mul_f64 v[122:123], v[171:172], s[8:9]
	v_mul_f64 v[132:133], v[229:230], s[2:3]
	v_add_f64 v[187:188], v[154:155], -v[126:127]
	s_mov_b32 s20, 0x2ef20147
	s_mov_b32 s21, 0xbfedeba7
	v_add_f64 v[179:180], v[152:153], v[124:125]
	s_mov_b32 s18, 0xb2365da1
	s_mov_b32 s19, 0xbfd6b1d8
	v_add_f64 v[195:196], v[154:155], v[126:127]
	v_add_f64 v[201:202], v[152:153], -v[124:125]
	v_add_f64 v[197:198], v[150:151], -v[130:131]
	s_mov_b32 s34, 0x24c2f84
	s_mov_b32 s35, 0x3fe5384d
	;; [unrolled: 1-line block ×4, first 2 shown]
	v_add_f64 v[193:194], v[148:149], v[128:129]
	s_mov_b32 s26, 0xd0032e0c
	s_mov_b32 s27, 0xbfe7f3cc
	v_add_f64 v[207:208], v[150:151], v[130:131]
	buffer_store_dword v120, off, s[48:51], 0 offset:44 ; 4-byte Folded Spill
	buffer_store_dword v121, off, s[48:51], 0 offset:48 ; 4-byte Folded Spill
	;; [unrolled: 1-line block ×6, first 2 shown]
	v_add_f64 v[213:214], v[148:149], -v[128:129]
	v_add_f64 v[205:206], v[146:147], -v[142:143]
	s_mov_b32 s31, 0xbfcea1e5
	s_mov_b32 s30, 0x4bc48dbf
	v_add_f64 v[203:204], v[144:145], v[140:141]
	s_mov_b32 s28, 0x93053d00
	s_mov_b32 s29, 0xbfef11f4
	v_add_f64 v[209:210], v[146:147], v[142:143]
	v_mul_f64 v[134:135], v[171:172], s[20:21]
	v_mul_f64 v[136:137], v[175:176], s[18:19]
	v_add_f64 v[211:212], v[144:145], -v[140:141]
	v_mul_f64 v[243:244], v[185:186], s[8:9]
	v_mul_f64 v[245:246], v[229:230], s[10:11]
	;; [unrolled: 1-line block ×3, first 2 shown]
	s_mov_b32 s41, 0x3fefc445
	s_mov_b32 s40, s22
	v_mul_f64 v[217:218], v[207:208], s[16:17]
	s_mov_b32 s37, 0x3fddbe06
	s_mov_b32 s36, s24
	v_mul_f64 v[247:248], v[185:186], s[22:23]
	v_mul_f64 v[253:254], v[171:172], s[30:31]
	v_mul_f64 v[249:250], v[229:230], s[16:17]
	v_mul_f64 v[227:228], v[175:176], s[28:29]
	s_mov_b32 s43, 0x3fedeba7
	s_mov_b32 s42, s20
	v_mul_f64 v[235:236], v[181:182], s[18:19]
	v_mul_f64 v[231:232], v[187:188], s[36:37]
	;; [unrolled: 1-line block ×6, first 2 shown]
	v_fma_f64 v[138:139], v[169:170], s[28:29], -v[253:254]
	v_fma_f64 v[221:222], v[189:190], s[30:31], v[227:228]
	v_fma_f64 v[120:121], v[183:184], s[2:3], -v[120:121]
	v_fma_f64 v[122:123], v[169:170], s[10:11], -v[122:123]
	v_fma_f64 v[132:133], v[225:226], s[24:25], v[132:133]
	v_add_f64 v[120:121], v[116:117], v[120:121]
	v_add_f64 v[120:121], v[122:123], v[120:121]
	;; [unrolled: 1-line block ×3, first 2 shown]
	v_mul_f64 v[132:133], v[175:176], s[10:11]
	buffer_store_dword v132, off, s[48:51], 0 offset:60 ; 4-byte Folded Spill
	buffer_store_dword v133, off, s[48:51], 0 offset:64 ; 4-byte Folded Spill
	v_fma_f64 v[132:133], v[189:190], s[8:9], v[132:133]
	v_add_f64 v[122:123], v[132:133], v[122:123]
	v_mul_f64 v[132:133], v[177:178], s[22:23]
	buffer_store_dword v132, off, s[48:51], 0 offset:68 ; 4-byte Folded Spill
	buffer_store_dword v133, off, s[48:51], 0 offset:72 ; 4-byte Folded Spill
	v_fma_f64 v[132:133], v[173:174], s[16:17], -v[132:133]
	v_add_f64 v[120:121], v[132:133], v[120:121]
	v_mul_f64 v[132:133], v[181:182], s[16:17]
	buffer_store_dword v132, off, s[48:51], 0 offset:76 ; 4-byte Folded Spill
	buffer_store_dword v133, off, s[48:51], 0 offset:80 ; 4-byte Folded Spill
	v_fma_f64 v[132:133], v[191:192], s[22:23], v[132:133]
	v_add_f64 v[122:123], v[132:133], v[122:123]
	v_mul_f64 v[132:133], v[187:188], s[20:21]
	buffer_store_dword v132, off, s[48:51], 0 offset:84 ; 4-byte Folded Spill
	buffer_store_dword v133, off, s[48:51], 0 offset:88 ; 4-byte Folded Spill
	v_fma_f64 v[132:133], v[179:180], s[18:19], -v[132:133]
	v_add_f64 v[120:121], v[132:133], v[120:121]
	;; [unrolled: 10-line block ×4, first 2 shown]
	v_mul_f64 v[132:133], v[209:210], s[28:29]
	buffer_store_dword v132, off, s[48:51], 0 offset:148 ; 4-byte Folded Spill
	buffer_store_dword v133, off, s[48:51], 0 offset:152 ; 4-byte Folded Spill
	;; [unrolled: 1-line block ×6, first 2 shown]
	v_fma_f64 v[132:133], v[211:212], s[30:31], v[132:133]
	v_fma_f64 v[134:135], v[169:170], s[18:19], -v[134:135]
	v_fma_f64 v[136:137], v[189:190], s[20:21], v[136:137]
	v_add_f64 v[122:123], v[132:133], v[122:123]
	v_fma_f64 v[132:133], v[183:184], s[10:11], -v[243:244]
	v_add_f64 v[132:133], v[116:117], v[132:133]
	v_add_f64 v[132:133], v[134:135], v[132:133]
	v_fma_f64 v[134:135], v[225:226], s[8:9], v[245:246]
	v_add_f64 v[134:135], v[118:119], v[134:135]
	v_add_f64 v[134:135], v[136:137], v[134:135]
	v_mul_f64 v[136:137], v[177:178], s[30:31]
	buffer_store_dword v136, off, s[48:51], 0 offset:140 ; 4-byte Folded Spill
	buffer_store_dword v137, off, s[48:51], 0 offset:144 ; 4-byte Folded Spill
	v_fma_f64 v[136:137], v[173:174], s[28:29], -v[136:137]
	v_add_f64 v[132:133], v[136:137], v[132:133]
	v_mul_f64 v[136:137], v[181:182], s[28:29]
	buffer_store_dword v136, off, s[48:51], 0 offset:188 ; 4-byte Folded Spill
	buffer_store_dword v137, off, s[48:51], 0 offset:192 ; 4-byte Folded Spill
	v_fma_f64 v[136:137], v[191:192], s[30:31], v[136:137]
	v_add_f64 v[134:135], v[136:137], v[134:135]
	v_mul_f64 v[136:137], v[187:188], s[34:35]
	buffer_store_dword v136, off, s[48:51], 0 offset:156 ; 4-byte Folded Spill
	buffer_store_dword v137, off, s[48:51], 0 offset:160 ; 4-byte Folded Spill
	v_fma_f64 v[136:137], v[179:180], s[26:27], -v[136:137]
	v_add_f64 v[132:133], v[136:137], v[132:133]
	v_fma_f64 v[136:137], v[201:202], s[34:35], v[215:216]
	v_add_f64 v[134:135], v[136:137], v[134:135]
	v_mul_f64 v[136:137], v[197:198], s[40:41]
	buffer_store_dword v136, off, s[48:51], 0 offset:172 ; 4-byte Folded Spill
	buffer_store_dword v137, off, s[48:51], 0 offset:176 ; 4-byte Folded Spill
	v_fma_f64 v[136:137], v[193:194], s[16:17], -v[136:137]
	v_add_f64 v[132:133], v[136:137], v[132:133]
	v_fma_f64 v[136:137], v[213:214], s[40:41], v[217:218]
	v_add_f64 v[134:135], v[136:137], v[134:135]
	v_mul_f64 v[136:137], v[205:206], s[36:37]
	buffer_store_dword v136, off, s[48:51], 0 offset:180 ; 4-byte Folded Spill
	buffer_store_dword v137, off, s[48:51], 0 offset:184 ; 4-byte Folded Spill
	s_waitcnt_vscnt null, 0x0
	s_barrier
	buffer_gl0_inv
	v_fma_f64 v[136:137], v[203:204], s[2:3], -v[136:137]
	v_add_f64 v[132:133], v[136:137], v[132:133]
	v_fma_f64 v[136:137], v[211:212], s[36:37], v[219:220]
	v_add_f64 v[134:135], v[136:137], v[134:135]
	v_fma_f64 v[136:137], v[183:184], s[16:17], -v[247:248]
	v_add_f64 v[136:137], v[116:117], v[136:137]
	v_add_f64 v[136:137], v[138:139], v[136:137]
	v_fma_f64 v[138:139], v[225:226], s[22:23], v[249:250]
	v_add_f64 v[138:139], v[118:119], v[138:139]
	v_add_f64 v[138:139], v[221:222], v[138:139]
	v_mul_f64 v[221:222], v[177:178], s[42:43]
	v_fma_f64 v[223:224], v[173:174], s[18:19], -v[221:222]
	v_add_f64 v[136:137], v[223:224], v[136:137]
	v_fma_f64 v[223:224], v[191:192], s[42:43], v[235:236]
	v_add_f64 v[138:139], v[223:224], v[138:139]
	v_fma_f64 v[223:224], v[179:180], s[2:3], -v[231:232]
	v_add_f64 v[136:137], v[223:224], v[136:137]
	v_fma_f64 v[223:224], v[201:202], s[36:37], v[237:238]
	v_add_f64 v[138:139], v[223:224], v[138:139]
	;; [unrolled: 4-line block ×3, first 2 shown]
	v_mul_f64 v[223:224], v[205:206], s[38:39]
	v_fma_f64 v[239:240], v[203:204], s[26:27], -v[223:224]
	v_add_f64 v[136:137], v[239:240], v[136:137]
	v_mul_f64 v[239:240], v[209:210], s[26:27]
	v_fma_f64 v[199:200], v[211:212], s[38:39], v[239:240]
	v_add_f64 v[138:139], v[199:200], v[138:139]
	s_and_saveexec_b32 s1, vcc_lo
	s_cbranch_execz .LBB0_17
; %bb.16:
	v_add_f64 v[164:165], v[116:117], v[164:165]
	v_add_f64 v[166:167], v[118:119], v[166:167]
	;; [unrolled: 1-line block ×10, first 2 shown]
	v_mul_f64 v[152:153], v[185:186], s[20:21]
	v_add_f64 v[144:145], v[148:149], v[144:145]
	v_add_f64 v[146:147], v[150:151], v[146:147]
	v_mul_f64 v[148:149], v[185:186], s[30:31]
	v_mul_f64 v[150:151], v[185:186], s[38:39]
	v_fma_f64 v[158:159], v[183:184], s[18:19], v[152:153]
	v_fma_f64 v[152:153], v[183:184], s[18:19], -v[152:153]
	v_add_f64 v[140:141], v[144:145], v[140:141]
	s_clause 0x1
	buffer_load_dword v144, off, s[48:51], 0 offset:92
	buffer_load_dword v145, off, s[48:51], 0 offset:96
	v_add_f64 v[142:143], v[146:147], v[142:143]
	s_clause 0x1
	buffer_load_dword v146, off, s[48:51], 0 offset:44
	buffer_load_dword v147, off, s[48:51], 0 offset:48
	v_fma_f64 v[154:155], v[183:184], s[28:29], -v[148:149]
	v_fma_f64 v[148:149], v[183:184], s[28:29], v[148:149]
	v_fma_f64 v[156:157], v[183:184], s[26:27], -v[150:151]
	v_fma_f64 v[150:151], v[183:184], s[26:27], v[150:151]
	v_add_f64 v[152:153], v[116:117], v[152:153]
	v_add_f64 v[128:129], v[140:141], v[128:129]
	v_mul_f64 v[140:141], v[225:226], s[8:9]
	v_add_f64 v[130:131], v[142:143], v[130:131]
	v_mul_f64 v[142:143], v[225:226], s[24:25]
	v_add_f64 v[154:155], v[116:117], v[154:155]
	v_add_f64 v[148:149], v[116:117], v[148:149]
	;; [unrolled: 1-line block ×4, first 2 shown]
	s_mov_b32 s25, 0x3fea55e2
	s_mov_b32 s24, s8
	v_add_f64 v[124:125], v[128:129], v[124:125]
	v_mul_f64 v[128:129], v[225:226], s[22:23]
	v_add_f64 v[126:127], v[130:131], v[126:127]
	v_mul_f64 v[130:131], v[183:184], s[16:17]
	v_add_f64 v[140:141], v[245:246], -v[140:141]
	v_add_f64 v[112:113], v[124:125], v[112:113]
	v_mul_f64 v[124:125], v[225:226], s[20:21]
	v_add_f64 v[114:115], v[126:127], v[114:115]
	v_add_f64 v[130:131], v[130:131], v[247:248]
	v_add_f64 v[128:129], v[249:250], -v[128:129]
	v_add_f64 v[108:109], v[112:113], v[108:109]
	v_mul_f64 v[112:113], v[225:226], s[38:39]
	v_add_f64 v[110:111], v[114:115], v[110:111]
	v_fma_f64 v[126:127], v[229:230], s[18:19], v[124:125]
	v_fma_f64 v[124:125], v[229:230], s[18:19], -v[124:125]
	v_add_f64 v[130:131], v[116:117], v[130:131]
	v_add_f64 v[128:129], v[118:119], v[128:129]
	;; [unrolled: 1-line block ×3, first 2 shown]
	v_mul_f64 v[108:109], v[225:226], s[30:31]
	v_fma_f64 v[114:115], v[229:230], s[26:27], v[112:113]
	v_fma_f64 v[112:113], v[229:230], s[26:27], -v[112:113]
	v_add_f64 v[106:107], v[110:111], v[106:107]
	v_add_f64 v[166:167], v[118:119], v[124:125]
	;; [unrolled: 1-line block ×3, first 2 shown]
	v_mul_f64 v[225:226], v[211:212], s[40:41]
	v_fma_f64 v[110:111], v[229:230], s[28:29], v[108:109]
	v_fma_f64 v[108:109], v[229:230], s[28:29], -v[108:109]
	v_add_f64 v[164:165], v[118:119], v[112:113]
	v_mul_f64 v[112:113], v[189:190], s[36:37]
	v_add_f64 v[162:163], v[118:119], v[114:115]
	v_mul_f64 v[114:115], v[171:172], s[36:37]
	v_mul_f64 v[229:230], v[205:206], s[40:41]
	v_add_f64 v[110:111], v[118:119], v[110:111]
	v_add_f64 v[160:161], v[118:119], v[108:109]
	v_fma_f64 v[108:109], v[175:176], s[2:3], v[112:113]
	v_fma_f64 v[112:113], v[175:176], s[2:3], -v[112:113]
	v_add_f64 v[108:109], v[108:109], v[110:111]
	v_fma_f64 v[110:111], v[169:170], s[2:3], -v[114:115]
	v_add_f64 v[112:113], v[112:113], v[160:161]
	v_fma_f64 v[114:115], v[169:170], s[2:3], v[114:115]
	v_add_f64 v[110:111], v[110:111], v[154:155]
	v_add_f64 v[114:115], v[114:115], v[148:149]
	s_waitcnt vmcnt(2)
	v_add_f64 v[142:143], v[144:145], -v[142:143]
	v_mul_f64 v[144:145], v[183:184], s[2:3]
	v_add_f64 v[140:141], v[118:119], v[142:143]
	s_waitcnt vmcnt(0)
	v_add_f64 v[144:145], v[144:145], v[146:147]
	v_mul_f64 v[146:147], v[183:184], s[10:11]
	v_add_f64 v[142:143], v[116:117], v[144:145]
	v_add_f64 v[146:147], v[146:147], v[243:244]
	;; [unrolled: 1-line block ×4, first 2 shown]
	v_mul_f64 v[116:117], v[191:192], s[38:39]
	v_add_f64 v[158:159], v[118:119], v[126:127]
	v_fma_f64 v[118:119], v[181:182], s[26:27], v[116:117]
	v_fma_f64 v[116:117], v[181:182], s[26:27], -v[116:117]
	v_add_f64 v[108:109], v[118:119], v[108:109]
	v_mul_f64 v[118:119], v[177:178], s[38:39]
	v_add_f64 v[112:113], v[116:117], v[112:113]
	v_fma_f64 v[126:127], v[173:174], s[26:27], -v[118:119]
	v_fma_f64 v[116:117], v[173:174], s[26:27], v[118:119]
	v_fma_f64 v[118:119], v[203:204], s[16:17], v[229:230]
	v_add_f64 v[110:111], v[126:127], v[110:111]
	v_mul_f64 v[126:127], v[201:202], s[24:25]
	v_add_f64 v[114:115], v[116:117], v[114:115]
	v_fma_f64 v[154:155], v[195:196], s[10:11], v[126:127]
	v_fma_f64 v[116:117], v[195:196], s[10:11], -v[126:127]
	v_add_f64 v[108:109], v[154:155], v[108:109]
	v_mul_f64 v[154:155], v[187:188], s[24:25]
	v_add_f64 v[112:113], v[116:117], v[112:113]
	v_fma_f64 v[183:184], v[179:180], s[10:11], -v[154:155]
	v_fma_f64 v[116:117], v[179:180], s[10:11], v[154:155]
	v_add_f64 v[110:111], v[183:184], v[110:111]
	v_mul_f64 v[183:184], v[213:214], s[20:21]
	v_add_f64 v[114:115], v[116:117], v[114:115]
	v_fma_f64 v[185:186], v[207:208], s[18:19], v[183:184]
	v_fma_f64 v[116:117], v[207:208], s[18:19], -v[183:184]
	v_add_f64 v[108:109], v[185:186], v[108:109]
	v_mul_f64 v[185:186], v[197:198], s[20:21]
	v_add_f64 v[112:113], v[116:117], v[112:113]
	v_fma_f64 v[116:117], v[193:194], s[18:19], v[185:186]
	v_fma_f64 v[199:200], v[193:194], s[18:19], -v[185:186]
	v_add_f64 v[116:117], v[116:117], v[114:115]
	v_fma_f64 v[114:115], v[209:210], s[16:17], -v[225:226]
	v_add_f64 v[199:200], v[199:200], v[110:111]
	v_fma_f64 v[110:111], v[209:210], s[16:17], v[225:226]
	v_add_f64 v[114:115], v[114:115], v[112:113]
	v_add_f64 v[112:113], v[118:119], v[116:117]
	s_clause 0x3
	buffer_load_dword v118, off, s[48:51], 0 offset:60
	buffer_load_dword v119, off, s[48:51], 0 offset:64
	;; [unrolled: 1-line block ×4, first 2 shown]
	v_mul_f64 v[116:117], v[189:190], s[8:9]
	s_clause 0x9
	buffer_load_dword v148, off, s[48:51], 0 offset:76
	buffer_load_dword v149, off, s[48:51], 0 offset:80
	;; [unrolled: 1-line block ×10, first 2 shown]
	v_add_f64 v[110:111], v[110:111], v[108:109]
	v_fma_f64 v[108:109], v[203:204], s[16:17], -v[229:230]
	v_add_f64 v[108:109], v[108:109], v[199:200]
	v_mul_f64 v[199:200], v[211:212], s[38:39]
	v_add_f64 v[199:200], v[239:240], -v[199:200]
	s_waitcnt vmcnt(12)
	v_add_f64 v[116:117], v[118:119], -v[116:117]
	v_mul_f64 v[118:119], v[169:170], s[10:11]
	v_add_f64 v[116:117], v[116:117], v[140:141]
	s_waitcnt vmcnt(10)
	v_add_f64 v[118:119], v[118:119], v[126:127]
	v_mul_f64 v[126:127], v[191:192], s[22:23]
	v_mul_f64 v[140:141], v[193:194], s[26:27]
	v_add_f64 v[118:119], v[118:119], v[142:143]
	s_clause 0x1
	buffer_load_dword v142, off, s[48:51], 0 offset:108
	buffer_load_dword v143, off, s[48:51], 0 offset:112
	s_waitcnt vmcnt(10)
	v_add_f64 v[126:127], v[148:149], -v[126:127]
	v_mul_f64 v[148:149], v[173:174], s[16:17]
	v_add_f64 v[116:117], v[126:127], v[116:117]
	s_waitcnt vmcnt(8)
	v_add_f64 v[148:149], v[148:149], v[154:155]
	v_mul_f64 v[154:155], v[201:202], s[20:21]
	v_mul_f64 v[126:127], v[211:212], s[30:31]
	v_add_f64 v[118:119], v[148:149], v[118:119]
	s_waitcnt vmcnt(6)
	v_add_f64 v[154:155], v[160:161], -v[154:155]
	v_mul_f64 v[160:161], v[179:180], s[18:19]
	v_add_f64 v[116:117], v[154:155], v[116:117]
	s_waitcnt vmcnt(4)
	v_add_f64 v[160:161], v[160:161], v[183:184]
	v_mul_f64 v[183:184], v[213:214], s[38:39]
	v_add_f64 v[118:119], v[160:161], v[118:119]
	s_waitcnt vmcnt(2)
	v_add_f64 v[183:184], v[185:186], -v[183:184]
	v_mul_f64 v[160:161], v[179:180], s[26:27]
	v_mul_f64 v[185:186], v[193:194], s[10:11]
	v_add_f64 v[116:117], v[183:184], v[116:117]
	v_add_f64 v[185:186], v[185:186], v[233:234]
	s_waitcnt vmcnt(0)
	v_add_f64 v[140:141], v[140:141], v[142:143]
	s_clause 0x3
	buffer_load_dword v142, off, s[48:51], 0 offset:148
	buffer_load_dword v143, off, s[48:51], 0 offset:152
	;; [unrolled: 1-line block ×4, first 2 shown]
	v_add_f64 v[140:141], v[140:141], v[118:119]
	s_waitcnt vmcnt(2)
	v_add_f64 v[126:127], v[142:143], -v[126:127]
	v_mul_f64 v[142:143], v[203:204], s[28:29]
	v_add_f64 v[118:119], v[126:127], v[116:117]
	s_waitcnt vmcnt(0)
	v_add_f64 v[142:143], v[142:143], v[148:149]
	v_mul_f64 v[126:127], v[189:190], s[20:21]
	v_add_f64 v[116:117], v[142:143], v[140:141]
	s_clause 0x9
	buffer_load_dword v140, off, s[48:51], 0 offset:164
	buffer_load_dword v141, off, s[48:51], 0 offset:168
	;; [unrolled: 1-line block ×10, first 2 shown]
	s_waitcnt vmcnt(8)
	v_add_f64 v[126:127], v[140:141], -v[126:127]
	v_mul_f64 v[140:141], v[169:170], s[18:19]
	s_waitcnt vmcnt(0)
	v_add_f64 v[160:161], v[160:161], v[183:184]
	v_mul_f64 v[183:184], v[213:214], s[40:41]
	v_add_f64 v[124:125], v[126:127], v[124:125]
	v_add_f64 v[140:141], v[140:141], v[142:143]
	v_mul_f64 v[142:143], v[191:192], s[30:31]
	v_add_f64 v[183:184], v[217:218], -v[183:184]
	v_add_f64 v[126:127], v[140:141], v[144:145]
	v_add_f64 v[142:143], v[148:149], -v[142:143]
	v_mul_f64 v[148:149], v[173:174], s[28:29]
	s_clause 0x1
	buffer_load_dword v144, off, s[48:51], 0 offset:172
	buffer_load_dword v145, off, s[48:51], 0 offset:176
	v_mul_f64 v[140:141], v[193:194], s[16:17]
	v_add_f64 v[124:125], v[142:143], v[124:125]
	v_add_f64 v[148:149], v[148:149], v[154:155]
	v_mul_f64 v[154:155], v[201:202], s[34:35]
	v_mul_f64 v[142:143], v[211:212], s[36:37]
	v_add_f64 v[126:127], v[148:149], v[126:127]
	s_clause 0x1
	buffer_load_dword v148, off, s[48:51], 0 offset:180
	buffer_load_dword v149, off, s[48:51], 0 offset:184
	v_add_f64 v[154:155], v[215:216], -v[154:155]
	v_add_f64 v[142:143], v[219:220], -v[142:143]
	v_mul_f64 v[215:216], v[203:204], s[26:27]
	v_add_f64 v[126:127], v[160:161], v[126:127]
	v_mul_f64 v[160:161], v[179:180], s[2:3]
	v_add_f64 v[124:125], v[154:155], v[124:125]
	;; [unrolled: 2-line block ×3, first 2 shown]
	v_add_f64 v[160:161], v[160:161], v[231:232]
	v_add_f64 v[124:125], v[183:184], v[124:125]
	v_add_f64 v[154:155], v[237:238], -v[154:155]
	v_mul_f64 v[183:184], v[213:214], s[8:9]
	v_add_f64 v[183:184], v[241:242], -v[183:184]
	s_waitcnt vmcnt(2)
	v_add_f64 v[140:141], v[140:141], v[144:145]
	v_mul_f64 v[144:145], v[203:204], s[2:3]
	v_add_f64 v[140:141], v[140:141], v[126:127]
	v_add_f64 v[126:127], v[142:143], v[124:125]
	v_mul_f64 v[142:143], v[169:170], s[28:29]
	s_waitcnt vmcnt(0)
	v_add_f64 v[144:145], v[144:145], v[148:149]
	v_mul_f64 v[148:149], v[173:174], s[18:19]
	v_add_f64 v[142:143], v[142:143], v[253:254]
	v_add_f64 v[124:125], v[144:145], v[140:141]
	v_mul_f64 v[140:141], v[189:190], s[30:31]
	v_add_f64 v[130:131], v[142:143], v[130:131]
	v_mul_f64 v[144:145], v[191:192], s[42:43]
	v_add_f64 v[148:149], v[148:149], v[221:222]
	s_mov_b32 s31, 0x3fcea1e5
	v_add_f64 v[140:141], v[227:228], -v[140:141]
	v_add_f64 v[144:145], v[235:236], -v[144:145]
	v_add_f64 v[130:131], v[148:149], v[130:131]
	v_add_f64 v[128:129], v[140:141], v[128:129]
	v_mul_f64 v[140:141], v[189:190], s[34:35]
	v_mul_f64 v[189:190], v[189:190], s[40:41]
	v_add_f64 v[130:131], v[160:161], v[130:131]
	v_add_f64 v[128:129], v[144:145], v[128:129]
	v_fma_f64 v[142:143], v[175:176], s[26:27], -v[140:141]
	v_mul_f64 v[144:145], v[191:192], s[36:37]
	v_fma_f64 v[140:141], v[175:176], s[26:27], v[140:141]
	v_add_f64 v[128:129], v[154:155], v[128:129]
	v_add_f64 v[142:143], v[142:143], v[166:167]
	v_mul_f64 v[166:167], v[171:172], s[34:35]
	v_mul_f64 v[171:172], v[171:172], s[40:41]
	v_fma_f64 v[148:149], v[181:182], s[2:3], -v[144:145]
	v_mul_f64 v[154:155], v[201:202], s[22:23]
	v_fma_f64 v[144:145], v[181:182], s[2:3], v[144:145]
	v_add_f64 v[140:141], v[140:141], v[158:159]
	v_add_f64 v[128:129], v[183:184], v[128:129]
	v_add_f64 v[183:184], v[185:186], v[130:131]
	v_fma_f64 v[217:218], v[169:170], s[26:27], v[166:167]
	v_mul_f64 v[130:131], v[213:214], s[30:31]
	v_add_f64 v[142:143], v[148:149], v[142:143]
	v_mul_f64 v[148:149], v[177:178], s[36:37]
	v_mul_f64 v[177:178], v[177:178], s[8:9]
	v_fma_f64 v[160:161], v[195:196], s[16:17], -v[154:155]
	v_fma_f64 v[166:167], v[169:170], s[26:27], -v[166:167]
	v_add_f64 v[140:141], v[144:145], v[140:141]
	v_fma_f64 v[154:155], v[195:196], s[16:17], v[154:155]
	v_add_f64 v[146:147], v[217:218], v[146:147]
	v_fma_f64 v[217:218], v[175:176], s[16:17], v[189:190]
	v_fma_f64 v[189:190], v[175:176], s[16:17], -v[189:190]
	v_fma_f64 v[185:186], v[207:208], s[28:29], -v[130:131]
	v_mul_f64 v[175:176], v[197:198], s[36:37]
	v_add_f64 v[142:143], v[160:161], v[142:143]
	v_mul_f64 v[160:161], v[187:188], s[22:23]
	v_mul_f64 v[187:188], v[187:188], s[30:31]
	v_add_f64 v[152:153], v[166:167], v[152:153]
	v_mul_f64 v[166:167], v[205:206], s[20:21]
	v_add_f64 v[140:141], v[154:155], v[140:141]
	v_fma_f64 v[130:131], v[207:208], s[28:29], v[130:131]
	v_add_f64 v[162:163], v[217:218], v[162:163]
	v_fma_f64 v[217:218], v[169:170], s[16:17], -v[171:172]
	v_add_f64 v[164:165], v[189:190], v[164:165]
	v_mul_f64 v[189:190], v[191:192], s[8:9]
	v_fma_f64 v[171:172], v[169:170], s[16:17], v[171:172]
	v_add_f64 v[142:143], v[185:186], v[142:143]
	v_fma_f64 v[144:145], v[179:180], s[28:29], v[187:188]
	v_mul_f64 v[185:186], v[197:198], s[30:31]
	v_mul_f64 v[169:170], v[205:206], s[24:25]
	v_add_f64 v[156:157], v[217:218], v[156:157]
	v_fma_f64 v[217:218], v[173:174], s[2:3], v[148:149]
	v_fma_f64 v[191:192], v[181:182], s[10:11], v[189:190]
	v_fma_f64 v[189:190], v[181:182], s[10:11], -v[189:190]
	v_add_f64 v[150:151], v[171:172], v[150:151]
	v_mul_f64 v[171:172], v[201:202], s[30:31]
	v_fma_f64 v[148:149], v[173:174], s[2:3], -v[148:149]
	v_fma_f64 v[154:155], v[193:194], s[28:29], -v[185:186]
	v_add_f64 v[146:147], v[217:218], v[146:147]
	v_add_f64 v[162:163], v[191:192], v[162:163]
	;; [unrolled: 1-line block ×3, first 2 shown]
	v_fma_f64 v[191:192], v[173:174], s[10:11], -v[177:178]
	v_fma_f64 v[189:190], v[195:196], s[28:29], v[171:172]
	v_fma_f64 v[171:172], v[195:196], s[28:29], -v[171:172]
	v_add_f64 v[148:149], v[148:149], v[152:153]
	v_fma_f64 v[152:153], v[193:194], s[2:3], v[175:176]
	v_fma_f64 v[217:218], v[179:180], s[16:17], v[160:161]
	v_add_f64 v[156:157], v[191:192], v[156:157]
	v_add_f64 v[162:163], v[189:190], v[162:163]
	;; [unrolled: 1-line block ×3, first 2 shown]
	v_fma_f64 v[171:172], v[173:174], s[10:11], v[177:178]
	v_fma_f64 v[189:190], v[179:180], s[28:29], -v[187:188]
	v_fma_f64 v[173:174], v[203:204], s[18:19], v[166:167]
	v_fma_f64 v[166:167], v[203:204], s[18:19], -v[166:167]
	v_add_f64 v[146:147], v[217:218], v[146:147]
	v_fma_f64 v[217:218], v[193:194], s[28:29], v[185:186]
	v_add_f64 v[150:151], v[171:172], v[150:151]
	v_mul_f64 v[171:172], v[213:214], s[36:37]
	v_add_f64 v[156:157], v[189:190], v[156:157]
	v_add_f64 v[146:147], v[217:218], v[146:147]
	;; [unrolled: 1-line block ×3, first 2 shown]
	v_fma_f64 v[177:178], v[207:208], s[2:3], v[171:172]
	v_fma_f64 v[150:151], v[179:180], s[16:17], -v[160:161]
	v_fma_f64 v[158:159], v[207:208], s[2:3], -v[171:172]
	v_mul_f64 v[160:161], v[211:212], s[24:25]
	v_add_f64 v[171:172], v[130:131], v[140:141]
	v_fma_f64 v[140:141], v[203:204], s[10:11], v[169:170]
	v_fma_f64 v[169:170], v[203:204], s[10:11], -v[169:170]
	v_add_f64 v[130:131], v[199:200], v[128:129]
	v_add_f64 v[128:129], v[215:216], v[183:184]
	;; [unrolled: 1-line block ×4, first 2 shown]
	v_fma_f64 v[177:178], v[193:194], s[2:3], -v[175:176]
	v_add_f64 v[148:149], v[150:151], v[148:149]
	v_add_f64 v[158:159], v[158:159], v[164:165]
	v_mul_f64 v[164:165], v[211:212], s[20:21]
	v_fma_f64 v[150:151], v[209:210], s[10:11], -v[160:161]
	v_fma_f64 v[160:161], v[209:210], s[10:11], v[160:161]
	v_add_f64 v[140:141], v[140:141], v[146:147]
	v_add_f64 v[144:145], v[173:174], v[144:145]
	;; [unrolled: 1-line block ×4, first 2 shown]
	v_fma_f64 v[152:153], v[209:210], s[18:19], v[164:165]
	v_fma_f64 v[164:165], v[209:210], s[18:19], -v[164:165]
	v_add_f64 v[142:143], v[150:151], v[142:143]
	v_add_f64 v[154:155], v[160:161], v[171:172]
	;; [unrolled: 1-line block ×3, first 2 shown]
	s_clause 0x1
	buffer_load_dword v156, off, s[48:51], 0 offset:40
	buffer_load_dword v157, off, s[48:51], 0 offset:4
	v_add_f64 v[150:151], v[152:153], v[162:163]
	v_add_f64 v[146:147], v[164:165], v[158:159]
	;; [unrolled: 1-line block ×3, first 2 shown]
	s_waitcnt vmcnt(1)
	v_and_b32_e32 v156, 0xffff, v156
	s_waitcnt vmcnt(0)
	v_lshl_add_u32 v156, v156, 4, v157
	ds_write_b128 v156, v[104:107]
	ds_write_b128 v156, v[116:119] offset:16
	ds_write_b128 v156, v[124:127] offset:32
	;; [unrolled: 1-line block ×12, first 2 shown]
.LBB0_17:
	s_or_b32 exec_lo, exec_lo, s1
	s_waitcnt lgkmcnt(0)
	s_barrier
	buffer_gl0_inv
	ds_read_b128 v[104:107], v168 offset:7280
	ds_read_b128 v[108:111], v168 offset:8736
	;; [unrolled: 1-line block ×6, first 2 shown]
	ds_read_b128 v[140:143], v168
	ds_read_b128 v[144:147], v168 offset:1456
	ds_read_b128 v[148:151], v168 offset:2912
	;; [unrolled: 1-line block ×3, first 2 shown]
	s_waitcnt lgkmcnt(0)
	s_barrier
	buffer_gl0_inv
	v_mul_f64 v[156:157], v[42:43], v[106:107]
	v_mul_f64 v[42:43], v[42:43], v[104:105]
	;; [unrolled: 1-line block ×10, first 2 shown]
	v_fma_f64 v[104:105], v[40:41], v[104:105], v[156:157]
	v_fma_f64 v[40:41], v[40:41], v[106:107], -v[42:43]
	v_fma_f64 v[42:43], v[28:29], v[108:109], v[158:159]
	v_fma_f64 v[28:29], v[28:29], v[110:111], -v[30:31]
	v_fma_f64 v[110:111], v[24:25], v[124:125], v[164:165]
	v_fma_f64 v[30:31], v[32:33], v[112:113], v[160:161]
	v_fma_f64 v[32:33], v[32:33], v[114:115], -v[34:35]
	v_fma_f64 v[34:35], v[36:37], v[116:117], v[162:163]
	v_fma_f64 v[108:109], v[36:37], v[118:119], -v[38:39]
	v_fma_f64 v[112:113], v[24:25], v[126:127], -v[26:27]
	v_add_f64 v[36:37], v[140:141], -v[104:105]
	v_add_f64 v[38:39], v[142:143], -v[40:41]
	;; [unrolled: 1-line block ×10, first 2 shown]
	v_fma_f64 v[108:109], v[140:141], 2.0, -v[36:37]
	v_fma_f64 v[110:111], v[142:143], 2.0, -v[38:39]
	;; [unrolled: 1-line block ×5, first 2 shown]
	buffer_load_dword v128, off, s[48:51], 0 offset:32 ; 4-byte Folded Reload
	v_fma_f64 v[116:117], v[148:149], 2.0, -v[104:105]
	v_fma_f64 v[118:119], v[150:151], 2.0, -v[106:107]
	;; [unrolled: 1-line block ×5, first 2 shown]
	s_waitcnt vmcnt(0)
	ds_write_b128 v128, v[36:39] offset:208
	ds_write_b128 v128, v[108:111]
	buffer_load_dword v36, off, s[48:51], 0 offset:28 ; 4-byte Folded Reload
	s_waitcnt vmcnt(0)
	ds_write_b128 v36, v[112:115]
	ds_write_b128 v36, v[40:43] offset:208
	buffer_load_dword v36, off, s[48:51], 0 offset:24 ; 4-byte Folded Reload
	s_waitcnt vmcnt(0)
	ds_write_b128 v36, v[116:119]
	ds_write_b128 v36, v[104:107] offset:208
	;; [unrolled: 4-line block ×4, first 2 shown]
	s_waitcnt lgkmcnt(0)
	s_barrier
	buffer_gl0_inv
	ds_read_b128 v[36:39], v168
	ds_read_b128 v[116:119], v168 offset:2080
	ds_read_b128 v[112:115], v168 offset:4160
	ds_read_b128 v[104:107], v168 offset:6240
	ds_read_b128 v[40:43], v168 offset:8320
	ds_read_b128 v[108:111], v168 offset:10400
	ds_read_b128 v[124:127], v168 offset:12480
	s_and_saveexec_b32 s1, s0
	s_cbranch_execz .LBB0_19
; %bb.18:
	ds_read_b128 v[24:27], v168 offset:1456
	ds_read_b128 v[32:35], v168 offset:3536
	;; [unrolled: 1-line block ×7, first 2 shown]
.LBB0_19:
	s_or_b32 exec_lo, exec_lo, s1
	s_waitcnt lgkmcnt(5)
	v_mul_f64 v[128:129], v[62:63], v[118:119]
	v_mul_f64 v[62:63], v[62:63], v[116:117]
	s_waitcnt lgkmcnt(4)
	v_mul_f64 v[130:131], v[54:55], v[114:115]
	v_mul_f64 v[54:55], v[54:55], v[112:113]
	;; [unrolled: 3-line block ×3, first 2 shown]
	v_mul_f64 v[142:143], v[58:59], v[110:111]
	v_mul_f64 v[58:59], v[58:59], v[108:109]
	;; [unrolled: 1-line block ×6, first 2 shown]
	s_mov_b32 s10, 0x37e14327
	s_mov_b32 s18, 0xe976ee23
	;; [unrolled: 1-line block ×10, first 2 shown]
	v_fma_f64 v[116:117], v[60:61], v[116:117], v[128:129]
	v_fma_f64 v[60:61], v[60:61], v[118:119], -v[62:63]
	v_fma_f64 v[62:63], v[52:53], v[112:113], v[130:131]
	v_fma_f64 v[52:53], v[52:53], v[114:115], -v[54:55]
	;; [unrolled: 2-line block ×6, first 2 shown]
	s_mov_b32 s17, 0xbff2aaaa
	s_mov_b32 s20, 0x5476071b
	;; [unrolled: 1-line block ×10, first 2 shown]
	s_barrier
	buffer_gl0_inv
	v_add_f64 v[46:47], v[116:117], v[54:55]
	v_add_f64 v[48:49], v[60:61], v[64:65]
	;; [unrolled: 1-line block ×4, first 2 shown]
	v_add_f64 v[62:63], v[62:63], -v[66:67]
	v_add_f64 v[52:53], v[52:53], -v[56:57]
	v_add_f64 v[56:57], v[58:59], v[40:41]
	v_add_f64 v[66:67], v[44:45], v[42:43]
	v_add_f64 v[40:41], v[40:41], -v[58:59]
	v_add_f64 v[42:43], v[42:43], -v[44:45]
	;; [unrolled: 1-line block ×4, first 2 shown]
	v_add_f64 v[58:59], v[50:51], v[46:47]
	v_add_f64 v[60:61], v[104:105], v[48:49]
	v_add_f64 v[64:65], v[46:47], -v[56:57]
	v_add_f64 v[106:107], v[48:49], -v[66:67]
	;; [unrolled: 1-line block ×6, first 2 shown]
	v_add_f64 v[62:63], v[40:41], v[62:63]
	v_add_f64 v[52:53], v[42:43], v[52:53]
	v_add_f64 v[116:117], v[44:45], -v[40:41]
	v_add_f64 v[118:119], v[54:55], -v[42:43]
	v_add_f64 v[58:59], v[56:57], v[58:59]
	v_add_f64 v[60:61], v[66:67], v[60:61]
	v_add_f64 v[56:57], v[56:57], -v[50:51]
	v_add_f64 v[66:67], v[66:67], -v[104:105]
	v_mul_f64 v[64:65], v[64:65], s[10:11]
	v_mul_f64 v[106:107], v[106:107], s[10:11]
	;; [unrolled: 1-line block ×6, first 2 shown]
	v_add_f64 v[44:45], v[62:63], v[44:45]
	v_add_f64 v[40:41], v[36:37], v[58:59]
	;; [unrolled: 1-line block ×3, first 2 shown]
	v_add_f64 v[36:37], v[50:51], -v[46:47]
	v_add_f64 v[38:39], v[104:105], -v[48:49]
	v_mul_f64 v[46:47], v[56:57], s[8:9]
	v_mul_f64 v[48:49], v[66:67], s[8:9]
	v_add_f64 v[50:51], v[52:53], v[54:55]
	v_fma_f64 v[52:53], v[56:57], s[8:9], v[64:65]
	v_fma_f64 v[54:55], v[66:67], s[8:9], v[106:107]
	;; [unrolled: 1-line block ×4, first 2 shown]
	v_fma_f64 v[66:67], v[112:113], s[2:3], -v[108:109]
	v_fma_f64 v[104:105], v[114:115], s[2:3], -v[110:111]
	;; [unrolled: 1-line block ×4, first 2 shown]
	v_fma_f64 v[58:59], v[58:59], s[16:17], v[40:41]
	v_fma_f64 v[60:61], v[60:61], s[16:17], v[42:43]
	v_fma_f64 v[64:65], v[36:37], s[22:23], -v[64:65]
	v_fma_f64 v[106:107], v[38:39], s[22:23], -v[106:107]
	;; [unrolled: 1-line block ×4, first 2 shown]
	v_fma_f64 v[112:113], v[44:45], s[28:29], v[56:57]
	v_fma_f64 v[114:115], v[50:51], s[28:29], v[62:63]
	;; [unrolled: 1-line block ×6, first 2 shown]
	v_add_f64 v[108:109], v[52:53], v[58:59]
	v_add_f64 v[110:111], v[54:55], v[60:61]
	;; [unrolled: 1-line block ×7, first 2 shown]
	v_add_f64 v[46:47], v[110:111], -v[112:113]
	v_add_f64 v[48:49], v[104:105], v[64:65]
	v_add_f64 v[50:51], v[106:107], -v[66:67]
	v_add_f64 v[52:53], v[36:37], -v[56:57]
	v_add_f64 v[54:55], v[62:63], v[38:39]
	v_add_f64 v[56:57], v[56:57], v[36:37]
	v_add_f64 v[58:59], v[38:39], -v[62:63]
	v_add_f64 v[60:61], v[64:65], -v[104:105]
	v_add_f64 v[62:63], v[66:67], v[106:107]
	v_add_f64 v[64:65], v[108:109], -v[114:115]
	v_add_f64 v[66:67], v[112:113], v[110:111]
	v_add_nc_u32_e32 v36, 0x5b0, v255
	ds_write_b128 v251, v[40:43]
	ds_write_b128 v251, v[44:47] offset:416
	ds_write_b128 v251, v[48:51] offset:832
	;; [unrolled: 1-line block ×6, first 2 shown]
	s_and_saveexec_b32 s1, s0
	s_cbranch_execz .LBB0_21
; %bb.20:
	v_mul_f64 v[37:38], v[18:19], v[100:101]
	v_mul_f64 v[39:40], v[10:11], v[32:33]
	;; [unrolled: 1-line block ×12, first 2 shown]
	v_fma_f64 v[37:38], v[16:17], v[102:103], -v[37:38]
	v_fma_f64 v[34:35], v[8:9], v[34:35], -v[39:40]
	;; [unrolled: 1-line block ×4, first 2 shown]
	v_fma_f64 v[8:9], v[8:9], v[32:33], v[10:11]
	v_fma_f64 v[10:11], v[16:17], v[100:101], v[18:19]
	;; [unrolled: 1-line block ×6, first 2 shown]
	v_fma_f64 v[0:1], v[0:1], v[138:139], -v[2:3]
	v_fma_f64 v[2:3], v[12:13], v[134:135], -v[14:15]
	v_add_f64 v[12:13], v[34:35], v[37:38]
	v_add_f64 v[14:15], v[30:31], v[39:40]
	;; [unrolled: 1-line block ×3, first 2 shown]
	v_add_f64 v[8:9], v[8:9], -v[10:11]
	v_add_f64 v[22:23], v[4:5], v[6:7]
	v_add_f64 v[4:5], v[4:5], -v[6:7]
	v_add_f64 v[28:29], v[16:17], -v[18:19]
	v_add_f64 v[16:17], v[18:19], v[16:17]
	v_add_f64 v[6:7], v[0:1], v[2:3]
	v_add_f64 v[0:1], v[2:3], -v[0:1]
	v_add_f64 v[2:3], v[30:31], -v[39:40]
	;; [unrolled: 1-line block ×3, first 2 shown]
	v_add_f64 v[10:11], v[14:15], v[12:13]
	v_add_f64 v[30:31], v[22:23], v[20:21]
	v_add_f64 v[39:40], v[4:5], -v[8:9]
	v_add_f64 v[32:33], v[28:29], -v[4:5]
	;; [unrolled: 1-line block ×7, first 2 shown]
	v_add_f64 v[4:5], v[28:29], v[4:5]
	v_add_f64 v[28:29], v[0:1], v[2:3]
	v_add_f64 v[12:13], v[14:15], -v[12:13]
	v_add_f64 v[49:50], v[18:19], -v[0:1]
	v_add_f64 v[20:21], v[22:23], -v[20:21]
	v_add_f64 v[10:11], v[6:7], v[10:11]
	v_add_f64 v[6:7], v[6:7], -v[14:15]
	v_add_f64 v[30:31], v[16:17], v[30:31]
	v_add_f64 v[16:17], v[16:17], -v[22:23]
	v_mul_f64 v[32:33], v[32:33], s[18:19]
	v_mul_f64 v[47:48], v[39:40], s[2:3]
	v_mul_f64 v[34:35], v[34:35], s[10:11]
	v_mul_f64 v[37:38], v[37:38], s[10:11]
	v_add_f64 v[4:5], v[4:5], v[8:9]
	v_add_f64 v[8:9], v[28:29], v[18:19]
	;; [unrolled: 1-line block ×3, first 2 shown]
	v_mul_f64 v[14:15], v[6:7], s[8:9]
	v_mul_f64 v[26:27], v[41:42], s[18:19]
	;; [unrolled: 1-line block ×3, first 2 shown]
	v_add_f64 v[0:1], v[24:25], v[30:31]
	v_mul_f64 v[22:23], v[16:17], s[8:9]
	v_fma_f64 v[18:19], v[45:46], s[24:25], v[32:33]
	v_fma_f64 v[24:25], v[45:46], s[26:27], -v[47:48]
	v_fma_f64 v[28:29], v[39:40], s[2:3], -v[32:33]
	;; [unrolled: 1-line block ×3, first 2 shown]
	v_fma_f64 v[6:7], v[6:7], s[8:9], v[34:35]
	v_fma_f64 v[16:17], v[16:17], s[8:9], v[37:38]
	v_fma_f64 v[37:38], v[20:21], s[22:23], -v[37:38]
	v_fma_f64 v[10:11], v[10:11], s[16:17], v[2:3]
	v_fma_f64 v[12:13], v[12:13], s[20:21], -v[14:15]
	;; [unrolled: 2-line block ×3, first 2 shown]
	v_mov_b32_e32 v43, 0xb6
	v_fma_f64 v[20:21], v[20:21], s[20:21], -v[22:23]
	v_fma_f64 v[39:40], v[4:5], s[28:29], v[18:19]
	v_fma_f64 v[22:23], v[4:5], s[28:29], v[24:25]
	;; [unrolled: 1-line block ×4, first 2 shown]
	v_fma_f64 v[34:35], v[49:50], s[26:27], -v[41:42]
	v_add_f64 v[28:29], v[32:33], v[10:11]
	v_add_f64 v[24:25], v[6:7], v[10:11]
	;; [unrolled: 1-line block ×3, first 2 shown]
	v_fma_f64 v[32:33], v[8:9], s[28:29], v[14:15]
	v_add_f64 v[41:42], v[16:17], v[30:31]
	v_fma_f64 v[34:35], v[8:9], s[28:29], v[34:35]
	v_add_f64 v[37:38], v[37:38], v[30:31]
	v_fma_f64 v[8:9], v[8:9], s[28:29], v[26:27]
	v_add_f64 v[30:31], v[20:21], v[30:31]
	v_add_f64 v[10:11], v[22:23], v[28:29]
	v_add_f64 v[22:23], v[28:29], -v[22:23]
	s_clause 0x1
	buffer_load_dword v28, off, s[48:51], 0 offset:8
	buffer_load_dword v29, off, s[48:51], 0 offset:12
	v_add_f64 v[6:7], v[39:40], v[24:25]
	v_add_f64 v[26:27], v[24:25], -v[39:40]
	v_add_f64 v[18:19], v[4:5], v[12:13]
	v_add_f64 v[14:15], v[12:13], -v[4:5]
	v_add_f64 v[24:25], v[32:33], v[41:42]
	v_add_f64 v[4:5], v[41:42], -v[32:33]
	v_add_f64 v[20:21], v[34:35], v[37:38]
	v_add_f64 v[16:17], v[30:31], -v[8:9]
	v_add_f64 v[12:13], v[8:9], v[30:31]
	v_add_f64 v[8:9], v[37:38], -v[34:35]
	s_waitcnt vmcnt(1)
	v_mul_u32_u24_sdwa v28, v28, v43 dst_sel:DWORD dst_unused:UNUSED_PAD src0_sel:WORD_0 src1_sel:DWORD
	s_waitcnt vmcnt(0)
	v_add_nc_u32_e32 v28, v28, v29
	buffer_load_dword v29, off, s[48:51], 0 offset:4 ; 4-byte Folded Reload
	s_waitcnt vmcnt(0)
	v_lshl_add_u32 v28, v28, 4, v29
	ds_write_b128 v28, v[0:3]
	ds_write_b128 v28, v[24:27] offset:416
	ds_write_b128 v28, v[20:23] offset:832
	;; [unrolled: 1-line block ×6, first 2 shown]
.LBB0_21:
	s_or_b32 exec_lo, exec_lo, s1
	s_waitcnt lgkmcnt(0)
	s_barrier
	buffer_gl0_inv
	ds_read_b128 v[0:3], v168 offset:2912
	ds_read_b128 v[4:7], v168 offset:5824
	;; [unrolled: 1-line block ×8, first 2 shown]
	s_mov_b32 s2, 0x134454ff
	s_mov_b32 s3, 0xbfee6f0e
	;; [unrolled: 1-line block ×8, first 2 shown]
	s_waitcnt lgkmcnt(7)
	v_mul_f64 v[32:33], v[94:95], v[2:3]
	s_waitcnt lgkmcnt(6)
	v_mul_f64 v[37:38], v[98:99], v[6:7]
	v_mul_f64 v[39:40], v[98:99], v[4:5]
	s_waitcnt lgkmcnt(5)
	v_mul_f64 v[41:42], v[86:87], v[10:11]
	v_mul_f64 v[45:46], v[86:87], v[8:9]
	s_waitcnt lgkmcnt(4)
	v_mul_f64 v[47:48], v[90:91], v[14:15]
	v_mul_f64 v[34:35], v[94:95], v[0:1]
	v_mul_f64 v[43:44], v[90:91], v[12:13]
	s_waitcnt lgkmcnt(2)
	v_mul_f64 v[53:54], v[82:83], v[22:23]
	v_mul_f64 v[55:56], v[82:83], v[20:21]
	s_waitcnt lgkmcnt(1)
	v_mul_f64 v[57:58], v[78:79], v[26:27]
	v_mul_f64 v[59:60], v[78:79], v[24:25]
	;; [unrolled: 1-line block ×4, first 2 shown]
	s_waitcnt lgkmcnt(0)
	v_mul_f64 v[61:62], v[74:75], v[30:31]
	v_mul_f64 v[63:64], v[74:75], v[28:29]
	v_fma_f64 v[32:33], v[92:93], v[0:1], v[32:33]
	v_fma_f64 v[37:38], v[96:97], v[4:5], v[37:38]
	v_fma_f64 v[39:40], v[96:97], v[6:7], -v[39:40]
	v_fma_f64 v[8:9], v[84:85], v[8:9], v[41:42]
	v_fma_f64 v[10:11], v[84:85], v[10:11], -v[45:46]
	v_fma_f64 v[12:13], v[88:89], v[12:13], v[47:48]
	v_fma_f64 v[34:35], v[92:93], v[2:3], -v[34:35]
	v_fma_f64 v[14:15], v[88:89], v[14:15], -v[43:44]
	v_fma_f64 v[20:21], v[80:81], v[20:21], v[53:54]
	v_fma_f64 v[22:23], v[80:81], v[22:23], -v[55:56]
	v_fma_f64 v[24:25], v[76:77], v[24:25], v[57:58]
	;; [unrolled: 2-line block ×4, first 2 shown]
	v_fma_f64 v[30:31], v[72:73], v[30:31], -v[63:64]
	ds_read_b128 v[0:3], v168
	ds_read_b128 v[4:7], v168 offset:1456
	v_add_f64 v[49:50], v[32:33], -v[37:38]
	v_add_f64 v[55:56], v[37:38], -v[32:33]
	v_add_f64 v[43:44], v[37:38], v[8:9]
	v_add_f64 v[61:62], v[39:40], v[10:11]
	;; [unrolled: 1-line block ×3, first 2 shown]
	v_add_f64 v[51:52], v[12:13], -v[8:9]
	v_add_f64 v[67:68], v[34:35], v[14:15]
	v_add_f64 v[45:46], v[34:35], -v[14:15]
	v_add_f64 v[47:48], v[39:40], -v[10:11]
	v_add_f64 v[73:74], v[20:21], v[24:25]
	v_add_f64 v[81:82], v[22:23], v[26:27]
	v_add_f64 v[57:58], v[8:9], -v[12:13]
	v_add_f64 v[65:66], v[34:35], -v[39:40]
	s_waitcnt lgkmcnt(1)
	v_add_f64 v[41:42], v[0:1], v[32:33]
	v_add_f64 v[77:78], v[16:17], v[28:29]
	;; [unrolled: 1-line block ×4, first 2 shown]
	s_waitcnt lgkmcnt(0)
	v_add_f64 v[75:76], v[4:5], v[16:17]
	v_add_f64 v[95:96], v[6:7], v[18:19]
	v_add_f64 v[32:33], v[32:33], -v[12:13]
	v_add_f64 v[69:70], v[14:15], -v[10:11]
	;; [unrolled: 1-line block ×5, first 2 shown]
	v_fma_f64 v[43:44], v[43:44], -0.5, v[0:1]
	v_fma_f64 v[61:62], v[61:62], -0.5, v[2:3]
	v_fma_f64 v[0:1], v[53:54], -0.5, v[0:1]
	v_add_f64 v[79:80], v[18:19], -v[30:31]
	v_fma_f64 v[2:3], v[67:68], -0.5, v[2:3]
	v_add_f64 v[87:88], v[16:17], -v[20:21]
	v_add_f64 v[91:92], v[20:21], -v[16:17]
	;; [unrolled: 1-line block ×3, first 2 shown]
	v_fma_f64 v[73:74], v[73:74], -0.5, v[4:5]
	v_add_f64 v[85:86], v[22:23], -v[26:27]
	v_add_f64 v[89:90], v[28:29], -v[24:25]
	v_add_f64 v[37:38], v[41:42], v[37:38]
	v_add_f64 v[41:42], v[49:50], v[51:52]
	v_fma_f64 v[49:50], v[81:82], -0.5, v[6:7]
	v_add_f64 v[53:54], v[20:21], -v[24:25]
	v_fma_f64 v[4:5], v[77:78], -0.5, v[4:5]
	v_fma_f64 v[6:7], v[83:84], -0.5, v[6:7]
	v_add_f64 v[39:40], v[59:60], v[39:40]
	v_add_f64 v[97:98], v[18:19], -v[22:23]
	v_add_f64 v[18:19], v[22:23], -v[18:19]
	v_add_f64 v[20:21], v[75:76], v[20:21]
	v_add_f64 v[22:23], v[95:96], v[22:23]
	v_add_f64 v[99:100], v[26:27], -v[30:31]
	v_add_f64 v[51:52], v[55:56], v[57:58]
	v_add_f64 v[55:56], v[65:66], v[69:70]
	v_fma_f64 v[59:60], v[45:46], s[2:3], v[43:44]
	v_fma_f64 v[43:44], v[45:46], s[10:11], v[43:44]
	;; [unrolled: 1-line block ×5, first 2 shown]
	v_add_f64 v[34:35], v[34:35], v[71:72]
	v_fma_f64 v[71:72], v[63:64], s[2:3], v[2:3]
	v_fma_f64 v[2:3], v[63:64], s[10:11], v[2:3]
	;; [unrolled: 1-line block ×3, first 2 shown]
	v_add_f64 v[67:68], v[30:31], -v[26:27]
	v_fma_f64 v[77:78], v[79:80], s[2:3], v[73:74]
	v_fma_f64 v[73:74], v[79:80], s[10:11], v[73:74]
	;; [unrolled: 1-line block ×3, first 2 shown]
	v_add_f64 v[93:94], v[24:25], -v[28:29]
	v_add_f64 v[57:58], v[87:88], v[89:90]
	v_fma_f64 v[81:82], v[85:86], s[10:11], v[4:5]
	v_fma_f64 v[87:88], v[53:54], s[2:3], v[6:7]
	;; [unrolled: 1-line block ×5, first 2 shown]
	v_add_f64 v[8:9], v[37:38], v[8:9]
	v_add_f64 v[10:11], v[39:40], v[10:11]
	;; [unrolled: 1-line block ×5, first 2 shown]
	v_fma_f64 v[18:19], v[47:48], s[0:1], v[59:60]
	v_fma_f64 v[37:38], v[47:48], s[8:9], v[43:44]
	;; [unrolled: 1-line block ×8, first 2 shown]
	v_add_f64 v[67:68], v[97:98], v[67:68]
	v_fma_f64 v[24:25], v[85:86], s[0:1], v[77:78]
	v_fma_f64 v[26:27], v[85:86], s[8:9], v[73:74]
	;; [unrolled: 1-line block ×3, first 2 shown]
	v_add_f64 v[75:76], v[91:92], v[93:94]
	v_fma_f64 v[61:62], v[79:80], s[0:1], v[81:82]
	v_fma_f64 v[69:70], v[16:17], s[8:9], v[87:88]
	;; [unrolled: 1-line block ×5, first 2 shown]
	s_mov_b32 s0, 0x372fe950
	s_mov_b32 s1, 0x3fd3c6ef
	v_add_f64 v[0:1], v[8:9], v[12:13]
	v_add_f64 v[2:3], v[10:11], v[14:15]
	;; [unrolled: 1-line block ×4, first 2 shown]
	v_fma_f64 v[4:5], v[41:42], s[0:1], v[18:19]
	v_fma_f64 v[12:13], v[51:52], s[0:1], v[39:40]
	v_fma_f64 v[6:7], v[55:56], s[0:1], v[45:46]
	v_fma_f64 v[14:15], v[34:35], s[0:1], v[59:60]
	v_fma_f64 v[16:17], v[51:52], s[0:1], v[43:44]
	v_fma_f64 v[18:19], v[34:35], s[0:1], v[32:33]
	v_fma_f64 v[8:9], v[41:42], s[0:1], v[37:38]
	v_fma_f64 v[10:11], v[55:56], s[0:1], v[47:48]
	v_fma_f64 v[24:25], v[57:58], s[0:1], v[24:25]
	v_fma_f64 v[28:29], v[57:58], s[0:1], v[26:27]
	v_fma_f64 v[26:27], v[67:68], s[0:1], v[65:66]
	v_fma_f64 v[32:33], v[75:76], s[0:1], v[61:62]
	v_fma_f64 v[34:35], v[89:90], s[0:1], v[69:70]
	v_fma_f64 v[37:38], v[75:76], s[0:1], v[63:64]
	v_fma_f64 v[39:40], v[89:90], s[0:1], v[71:72]
	v_fma_f64 v[30:31], v[67:68], s[0:1], v[49:50]
	ds_write_b128 v255, v[0:3]
	ds_write_b128 v255, v[20:23] offset:1456
	ds_write_b128 v255, v[4:7] offset:2912
	;; [unrolled: 1-line block ×9, first 2 shown]
	s_waitcnt lgkmcnt(0)
	s_barrier
	buffer_gl0_inv
	s_and_b32 exec_lo, exec_lo, vcc_lo
	s_cbranch_execz .LBB0_23
; %bb.22:
	buffer_load_dword v4, off, s[48:51], 0  ; 4-byte Folded Reload
	v_mad_u64_u32 v[48:49], null, s6, v252, 0
	s_mul_hi_u32 s1, s4, 0x460
	s_mul_i32 s2, s4, 0x460
	s_waitcnt vmcnt(0)
	v_add_co_u32 v38, s0, s14, v4
	v_add_co_ci_u32_e64 v39, null, s15, 0, s0
	s_mul_i32 s0, s5, 0x460
	v_add_co_u32 v12, vcc_lo, 0x800, v38
	v_add_co_ci_u32_e32 v13, vcc_lo, 0, v39, vcc_lo
	v_add_co_u32 v20, vcc_lo, 0x1000, v38
	v_add_co_ci_u32_e32 v21, vcc_lo, 0, v39, vcc_lo
	;; [unrolled: 2-line block ×6, first 2 shown]
	s_clause 0xb
	global_load_dwordx4 v[0:3], v4, s[14:15]
	global_load_dwordx4 v[4:7], v4, s[14:15] offset:1120
	global_load_dwordx4 v[8:11], v[12:13], off offset:192
	global_load_dwordx4 v[12:15], v[12:13], off offset:1312
	;; [unrolled: 1-line block ×10, first 2 shown]
	buffer_load_dword v54, off, s[48:51], 0 offset:36 ; 4-byte Folded Reload
	s_add_i32 s3, s1, s0
	s_mov_b32 s0, 0x12012012
	s_mov_b32 s1, 0x3f520120
	s_waitcnt vmcnt(0)
	v_mad_u64_u32 v[50:51], null, s4, v54, 0
	v_mad_u64_u32 v[52:53], null, s7, v252, v[49:50]
	v_mad_u64_u32 v[53:54], null, s5, v54, v[51:52]
	v_mov_b32_e32 v49, v52
	v_lshlrev_b64 v[48:49], 4, v[48:49]
	v_mov_b32_e32 v51, v53
	v_lshlrev_b64 v[50:51], 4, v[50:51]
	v_add_co_u32 v48, vcc_lo, s12, v48
	v_add_co_ci_u32_e32 v49, vcc_lo, s13, v49, vcc_lo
	v_add_co_u32 v98, vcc_lo, v48, v50
	v_add_co_ci_u32_e32 v99, vcc_lo, v49, v51, vcc_lo
	ds_read_b128 v[48:51], v255
	ds_read_b128 v[52:55], v255 offset:1120
	ds_read_b128 v[56:59], v255 offset:2240
	;; [unrolled: 1-line block ×11, first 2 shown]
	v_add_co_u32 v100, vcc_lo, v98, s2
	v_add_co_ci_u32_e32 v101, vcc_lo, s3, v99, vcc_lo
	v_add_co_u32 v102, vcc_lo, v100, s2
	v_add_co_ci_u32_e32 v103, vcc_lo, s3, v101, vcc_lo
	;; [unrolled: 2-line block ×3, first 2 shown]
	s_waitcnt lgkmcnt(11)
	v_mul_f64 v[118:119], v[50:51], v[2:3]
	v_mul_f64 v[2:3], v[48:49], v[2:3]
	s_waitcnt lgkmcnt(10)
	v_mul_f64 v[120:121], v[54:55], v[6:7]
	v_mul_f64 v[6:7], v[52:53], v[6:7]
	;; [unrolled: 3-line block ×12, first 2 shown]
	v_fma_f64 v[48:49], v[48:49], v[0:1], v[118:119]
	v_fma_f64 v[2:3], v[0:1], v[50:51], -v[2:3]
	v_fma_f64 v[50:51], v[52:53], v[4:5], v[120:121]
	v_fma_f64 v[6:7], v[4:5], v[54:55], -v[6:7]
	;; [unrolled: 2-line block ×7, first 2 shown]
	v_add_co_u32 v106, vcc_lo, v104, s2
	v_fma_f64 v[62:63], v[76:77], v[28:29], v[132:133]
	v_fma_f64 v[30:31], v[28:29], v[78:79], -v[30:31]
	v_fma_f64 v[64:65], v[80:81], v[32:33], v[134:135]
	v_fma_f64 v[34:35], v[32:33], v[82:83], -v[34:35]
	v_add_co_ci_u32_e32 v107, vcc_lo, s3, v105, vcc_lo
	v_fma_f64 v[66:67], v[84:85], v[36:37], v[136:137]
	v_fma_f64 v[38:39], v[36:37], v[86:87], -v[38:39]
	v_fma_f64 v[68:69], v[88:89], v[40:41], v[138:139]
	v_fma_f64 v[42:43], v[40:41], v[90:91], -v[42:43]
	;; [unrolled: 2-line block ×3, first 2 shown]
	v_add_co_u32 v108, vcc_lo, v106, s2
	v_add_co_ci_u32_e32 v109, vcc_lo, s3, v107, vcc_lo
	v_mul_f64 v[0:1], v[48:49], s[0:1]
	v_add_co_u32 v110, vcc_lo, v108, s2
	v_add_co_ci_u32_e32 v111, vcc_lo, s3, v109, vcc_lo
	v_mul_f64 v[2:3], v[2:3], s[0:1]
	v_add_co_u32 v112, vcc_lo, v110, s2
	v_mul_f64 v[4:5], v[50:51], s[0:1]
	v_mul_f64 v[6:7], v[6:7], s[0:1]
	v_add_co_ci_u32_e32 v113, vcc_lo, s3, v111, vcc_lo
	v_mul_f64 v[8:9], v[52:53], s[0:1]
	v_mul_f64 v[10:11], v[10:11], s[0:1]
	;; [unrolled: 1-line block ×6, first 2 shown]
	v_add_co_u32 v114, vcc_lo, v112, s2
	v_mul_f64 v[20:21], v[58:59], s[0:1]
	v_mul_f64 v[22:23], v[22:23], s[0:1]
	;; [unrolled: 1-line block ×4, first 2 shown]
	v_add_co_ci_u32_e32 v115, vcc_lo, s3, v113, vcc_lo
	v_mul_f64 v[28:29], v[62:63], s[0:1]
	v_mul_f64 v[30:31], v[30:31], s[0:1]
	;; [unrolled: 1-line block ×6, first 2 shown]
	v_add_co_u32 v116, vcc_lo, v114, s2
	v_mul_f64 v[40:41], v[68:69], s[0:1]
	v_mul_f64 v[42:43], v[42:43], s[0:1]
	v_mul_f64 v[44:45], v[70:71], s[0:1]
	v_mul_f64 v[46:47], v[46:47], s[0:1]
	v_add_co_ci_u32_e32 v117, vcc_lo, s3, v115, vcc_lo
	v_add_co_u32 v48, vcc_lo, v116, s2
	v_add_co_ci_u32_e32 v49, vcc_lo, s3, v117, vcc_lo
	v_add_co_u32 v50, vcc_lo, v48, s2
	v_add_co_ci_u32_e32 v51, vcc_lo, s3, v49, vcc_lo
	global_store_dwordx4 v[98:99], v[0:3], off
	global_store_dwordx4 v[100:101], v[4:7], off
	;; [unrolled: 1-line block ×12, first 2 shown]
	global_load_dwordx4 v[0:3], v[96:97], off offset:1152
	ds_read_b128 v[4:7], v255 offset:13440
	s_waitcnt vmcnt(0) lgkmcnt(0)
	v_mul_f64 v[8:9], v[6:7], v[2:3]
	v_mul_f64 v[2:3], v[4:5], v[2:3]
	v_fma_f64 v[4:5], v[4:5], v[0:1], v[8:9]
	v_fma_f64 v[2:3], v[0:1], v[6:7], -v[2:3]
	v_mul_f64 v[0:1], v[4:5], s[0:1]
	v_mul_f64 v[2:3], v[2:3], s[0:1]
	v_add_co_u32 v4, vcc_lo, v50, s2
	v_add_co_ci_u32_e32 v5, vcc_lo, s3, v51, vcc_lo
	global_store_dwordx4 v[4:5], v[0:3], off
.LBB0_23:
	s_endpgm
	.section	.rodata,"a",@progbits
	.p2align	6, 0x0
	.amdhsa_kernel bluestein_single_back_len910_dim1_dp_op_CI_CI
		.amdhsa_group_segment_fixed_size 29120
		.amdhsa_private_segment_fixed_size 200
		.amdhsa_kernarg_size 104
		.amdhsa_user_sgpr_count 6
		.amdhsa_user_sgpr_private_segment_buffer 1
		.amdhsa_user_sgpr_dispatch_ptr 0
		.amdhsa_user_sgpr_queue_ptr 0
		.amdhsa_user_sgpr_kernarg_segment_ptr 1
		.amdhsa_user_sgpr_dispatch_id 0
		.amdhsa_user_sgpr_flat_scratch_init 0
		.amdhsa_user_sgpr_private_segment_size 0
		.amdhsa_wavefront_size32 1
		.amdhsa_uses_dynamic_stack 0
		.amdhsa_system_sgpr_private_segment_wavefront_offset 1
		.amdhsa_system_sgpr_workgroup_id_x 1
		.amdhsa_system_sgpr_workgroup_id_y 0
		.amdhsa_system_sgpr_workgroup_id_z 0
		.amdhsa_system_sgpr_workgroup_info 0
		.amdhsa_system_vgpr_workitem_id 0
		.amdhsa_next_free_vgpr 256
		.amdhsa_next_free_sgpr 52
		.amdhsa_reserve_vcc 1
		.amdhsa_reserve_flat_scratch 0
		.amdhsa_float_round_mode_32 0
		.amdhsa_float_round_mode_16_64 0
		.amdhsa_float_denorm_mode_32 3
		.amdhsa_float_denorm_mode_16_64 3
		.amdhsa_dx10_clamp 1
		.amdhsa_ieee_mode 1
		.amdhsa_fp16_overflow 0
		.amdhsa_workgroup_processor_mode 1
		.amdhsa_memory_ordered 1
		.amdhsa_forward_progress 0
		.amdhsa_shared_vgpr_count 0
		.amdhsa_exception_fp_ieee_invalid_op 0
		.amdhsa_exception_fp_denorm_src 0
		.amdhsa_exception_fp_ieee_div_zero 0
		.amdhsa_exception_fp_ieee_overflow 0
		.amdhsa_exception_fp_ieee_underflow 0
		.amdhsa_exception_fp_ieee_inexact 0
		.amdhsa_exception_int_div_zero 0
	.end_amdhsa_kernel
	.text
.Lfunc_end0:
	.size	bluestein_single_back_len910_dim1_dp_op_CI_CI, .Lfunc_end0-bluestein_single_back_len910_dim1_dp_op_CI_CI
                                        ; -- End function
	.section	.AMDGPU.csdata,"",@progbits
; Kernel info:
; codeLenInByte = 22160
; NumSgprs: 54
; NumVgprs: 256
; ScratchSize: 200
; MemoryBound: 0
; FloatMode: 240
; IeeeMode: 1
; LDSByteSize: 29120 bytes/workgroup (compile time only)
; SGPRBlocks: 6
; VGPRBlocks: 31
; NumSGPRsForWavesPerEU: 54
; NumVGPRsForWavesPerEU: 256
; Occupancy: 4
; WaveLimiterHint : 1
; COMPUTE_PGM_RSRC2:SCRATCH_EN: 1
; COMPUTE_PGM_RSRC2:USER_SGPR: 6
; COMPUTE_PGM_RSRC2:TRAP_HANDLER: 0
; COMPUTE_PGM_RSRC2:TGID_X_EN: 1
; COMPUTE_PGM_RSRC2:TGID_Y_EN: 0
; COMPUTE_PGM_RSRC2:TGID_Z_EN: 0
; COMPUTE_PGM_RSRC2:TIDIG_COMP_CNT: 0
	.text
	.p2alignl 6, 3214868480
	.fill 48, 4, 3214868480
	.type	__hip_cuid_b3f7933e6b31ae8b,@object ; @__hip_cuid_b3f7933e6b31ae8b
	.section	.bss,"aw",@nobits
	.globl	__hip_cuid_b3f7933e6b31ae8b
__hip_cuid_b3f7933e6b31ae8b:
	.byte	0                               ; 0x0
	.size	__hip_cuid_b3f7933e6b31ae8b, 1

	.ident	"AMD clang version 19.0.0git (https://github.com/RadeonOpenCompute/llvm-project roc-6.4.0 25133 c7fe45cf4b819c5991fe208aaa96edf142730f1d)"
	.section	".note.GNU-stack","",@progbits
	.addrsig
	.addrsig_sym __hip_cuid_b3f7933e6b31ae8b
	.amdgpu_metadata
---
amdhsa.kernels:
  - .args:
      - .actual_access:  read_only
        .address_space:  global
        .offset:         0
        .size:           8
        .value_kind:     global_buffer
      - .actual_access:  read_only
        .address_space:  global
        .offset:         8
        .size:           8
        .value_kind:     global_buffer
      - .actual_access:  read_only
        .address_space:  global
        .offset:         16
        .size:           8
        .value_kind:     global_buffer
      - .actual_access:  read_only
        .address_space:  global
        .offset:         24
        .size:           8
        .value_kind:     global_buffer
      - .actual_access:  read_only
        .address_space:  global
        .offset:         32
        .size:           8
        .value_kind:     global_buffer
      - .offset:         40
        .size:           8
        .value_kind:     by_value
      - .address_space:  global
        .offset:         48
        .size:           8
        .value_kind:     global_buffer
      - .address_space:  global
        .offset:         56
        .size:           8
        .value_kind:     global_buffer
      - .address_space:  global
        .offset:         64
        .size:           8
        .value_kind:     global_buffer
      - .address_space:  global
        .offset:         72
        .size:           8
        .value_kind:     global_buffer
      - .offset:         80
        .size:           4
        .value_kind:     by_value
      - .address_space:  global
        .offset:         88
        .size:           8
        .value_kind:     global_buffer
      - .address_space:  global
        .offset:         96
        .size:           8
        .value_kind:     global_buffer
    .group_segment_fixed_size: 29120
    .kernarg_segment_align: 8
    .kernarg_segment_size: 104
    .language:       OpenCL C
    .language_version:
      - 2
      - 0
    .max_flat_workgroup_size: 182
    .name:           bluestein_single_back_len910_dim1_dp_op_CI_CI
    .private_segment_fixed_size: 200
    .sgpr_count:     54
    .sgpr_spill_count: 0
    .symbol:         bluestein_single_back_len910_dim1_dp_op_CI_CI.kd
    .uniform_work_group_size: 1
    .uses_dynamic_stack: false
    .vgpr_count:     256
    .vgpr_spill_count: 49
    .wavefront_size: 32
    .workgroup_processor_mode: 1
amdhsa.target:   amdgcn-amd-amdhsa--gfx1030
amdhsa.version:
  - 1
  - 2
...

	.end_amdgpu_metadata
